;; amdgpu-corpus repo=ROCm/rocFFT kind=compiled arch=gfx1201 opt=O3
	.text
	.amdgcn_target "amdgcn-amd-amdhsa--gfx1201"
	.amdhsa_code_object_version 6
	.protected	bluestein_single_back_len3125_dim1_half_op_CI_CI ; -- Begin function bluestein_single_back_len3125_dim1_half_op_CI_CI
	.globl	bluestein_single_back_len3125_dim1_half_op_CI_CI
	.p2align	8
	.type	bluestein_single_back_len3125_dim1_half_op_CI_CI,@function
bluestein_single_back_len3125_dim1_half_op_CI_CI: ; @bluestein_single_back_len3125_dim1_half_op_CI_CI
; %bb.0:
	s_load_b128 s[12:15], s[0:1], 0x28
	v_mul_u32_u24_e32 v1, 0x20d, v0
	s_mov_b32 s2, exec_lo
	v_mov_b32_e32 v98, 0
	s_delay_alu instid0(VALU_DEP_2) | instskip(NEXT) | instid1(VALU_DEP_1)
	v_lshrrev_b32_e32 v1, 16, v1
	v_add_nc_u32_e32 v97, ttmp9, v1
	s_wait_kmcnt 0x0
	s_delay_alu instid0(VALU_DEP_1)
	v_cmpx_gt_u64_e64 s[12:13], v[97:98]
	s_cbranch_execz .LBB0_2
; %bb.1:
	s_clause 0x1
	s_load_b128 s[8:11], s[0:1], 0x18
	s_load_b128 s[4:7], s[0:1], 0x0
	v_mul_lo_u16 v1, 0x7d, v1
	s_movk_i32 s12, 0xdae4
	s_mov_b32 s13, -1
	s_load_b64 s[0:1], s[0:1], 0x38
	s_delay_alu instid0(VALU_DEP_1) | instskip(NEXT) | instid1(VALU_DEP_1)
	v_sub_nc_u16 v24, v0, v1
	v_and_b32_e32 v138, 0xffff, v24
	s_wait_kmcnt 0x0
	s_load_b128 s[16:19], s[8:9], 0x0
	s_wait_kmcnt 0x0
	v_mad_co_u64_u32 v[0:1], null, s18, v97, 0
	v_mad_co_u64_u32 v[2:3], null, s16, v138, 0
	s_mul_u64 s[2:3], s[16:17], 0x9c4
	s_mul_u64 s[8:9], s[16:17], s[12:13]
	s_delay_alu instid0(VALU_DEP_1) | instskip(NEXT) | instid1(VALU_DEP_1)
	v_mad_co_u64_u32 v[4:5], null, s19, v97, v[1:2]
	v_mov_b32_e32 v1, v4
	s_delay_alu instid0(VALU_DEP_3) | instskip(SKIP_2) | instid1(VALU_DEP_4)
	v_mad_co_u64_u32 v[5:6], null, s17, v138, v[3:4]
	v_lshlrev_b32_e32 v87, 2, v138
	v_add_co_u32 v72, null, 0x1f4, v138
	v_lshlrev_b64_e32 v[0:1], 2, v[0:1]
	s_delay_alu instid0(VALU_DEP_3)
	v_dual_mov_b32 v3, v5 :: v_dual_add_nc_u32 v122, 0x1e00, v87
	s_clause 0x1
	global_load_b32 v135, v87, s[4:5]
	global_load_b32 v131, v87, s[4:5] offset:2500
	v_add_co_u32 v0, vcc_lo, s14, v0
	v_lshlrev_b64_e32 v[2:3], 2, v[2:3]
	v_add_co_ci_u32_e32 v1, vcc_lo, s15, v1, vcc_lo
	v_add_nc_u32_e32 v129, 0xa00, v87
	v_add_nc_u32_e32 v147, 0x1400, v87
	;; [unrolled: 1-line block ×3, first 2 shown]
	v_add_co_u32 v0, vcc_lo, v0, v2
	s_wait_alu 0xfffd
	v_add_co_ci_u32_e32 v1, vcc_lo, v1, v3, vcc_lo
	global_load_b32 v4, v[0:1], off
	global_load_b32 v128, v87, s[4:5] offset:5000
	v_add_co_u32 v2, vcc_lo, v0, s2
	s_wait_alu 0xfffd
	v_add_co_ci_u32_e32 v3, vcc_lo, s3, v1, vcc_lo
	global_load_b32 v5, v[2:3], off
	global_load_b32 v126, v87, s[4:5] offset:7500
	v_add_co_u32 v0, vcc_lo, v2, s2
	s_wait_alu 0xfffd
	v_add_co_ci_u32_e32 v1, vcc_lo, s3, v3, vcc_lo
	v_add_nc_u32_e32 v117, 0x200, v87
	s_delay_alu instid0(VALU_DEP_3) | instskip(SKIP_1) | instid1(VALU_DEP_3)
	v_add_co_u32 v2, vcc_lo, v0, s2
	s_wait_alu 0xfffd
	v_add_co_ci_u32_e32 v3, vcc_lo, s3, v1, vcc_lo
	s_clause 0x1
	global_load_b32 v6, v[0:1], off
	global_load_b32 v7, v[2:3], off
	v_add_co_u32 v0, vcc_lo, v2, s2
	s_wait_alu 0xfffd
	v_add_co_ci_u32_e32 v1, vcc_lo, s3, v3, vcc_lo
	global_load_b32 v121, v87, s[4:5] offset:10000
	v_add_nc_u32_e32 v101, 0xe00, v87
	v_add_nc_u32_e32 v134, 0x1800, v87
	global_load_b32 v8, v[0:1], off
	v_add_co_u32 v0, vcc_lo, v0, s8
	s_wait_alu 0xfffd
	v_add_co_ci_u32_e32 v1, vcc_lo, s9, v1, vcc_lo
	global_load_b32 v132, v87, s[4:5] offset:500
	global_load_b32 v9, v[0:1], off
	s_clause 0xb
	global_load_b32 v116, v87, s[4:5] offset:3000
	global_load_b32 v112, v87, s[4:5] offset:3500
	;; [unrolled: 1-line block ×12, first 2 shown]
	v_add_co_u32 v0, vcc_lo, v0, s2
	s_wait_alu 0xfffd
	v_add_co_ci_u32_e32 v1, vcc_lo, s3, v1, vcc_lo
	s_clause 0x1
	global_load_b32 v100, v87, s[4:5] offset:2000
	global_load_b32 v115, v87, s[4:5] offset:9500
	v_add_co_u32 v2, vcc_lo, v0, s2
	s_wait_alu 0xfffd
	v_add_co_ci_u32_e32 v3, vcc_lo, s3, v1, vcc_lo
	global_load_b32 v12, v[0:1], off
	v_add_nc_u32_e32 v96, 0x2200, v87
	v_add_nc_u32_e32 v127, 0x2c00, v87
	;; [unrolled: 1-line block ×8, first 2 shown]
	s_mov_b32 s14, 0x7aeb597c
	s_mov_b32 s15, 0x3f34fa6d
	s_wait_loadcnt 0x1a
	v_lshrrev_b32_e32 v140, 16, v135
	s_wait_loadcnt 0x19
	v_lshrrev_b32_e32 v14, 16, v131
	;; [unrolled: 2-line block ×4, first 2 shown]
	v_mul_f16_e64 v0, v140, v4
	s_delay_alu instid0(VALU_DEP_3) | instskip(NEXT) | instid1(VALU_DEP_2)
	v_mul_f16_e64 v1, v140, v10
	v_fma_f16 v0, v135, v10, -v0
	s_wait_loadcnt 0x16
	v_lshrrev_b32_e32 v11, 16, v5
	v_mul_f16_e32 v13, v14, v5
	s_wait_loadcnt 0x15
	v_lshrrev_b32_e32 v15, 16, v126
	v_fmac_f16_e64 v1, v135, v4
	v_mul_f16_e32 v4, v14, v11
	v_fma_f16 v11, v131, v11, -v13
	s_delay_alu instid0(VALU_DEP_3) | instskip(NEXT) | instid1(VALU_DEP_3)
	v_pack_b32_f16 v14, v1, v0
	v_fmac_f16_e64 v4, v131, v5
	s_wait_loadcnt 0x14
	v_lshrrev_b32_e32 v10, 16, v6
	v_mul_f16_e32 v13, v16, v6
	s_wait_loadcnt 0x13
	v_lshrrev_b32_e32 v1, 16, v7
	v_mul_f16_e32 v5, v15, v7
	v_pack_b32_f16 v4, v4, v11
	v_mul_f16_e32 v0, v16, v10
	v_fma_f16 v10, v128, v10, -v13
	s_wait_loadcnt 0x12
	v_lshrrev_b32_e32 v13, 16, v121
	v_fma_f16 v5, v126, v1, -v5
	v_mul_f16_e32 v1, v15, v1
	v_fmac_f16_e64 v0, v128, v6
	s_wait_loadcnt 0x11
	v_lshrrev_b32_e32 v6, 16, v8
	v_mul_f16_e32 v11, v13, v8
	s_wait_loadcnt 0x10
	v_lshrrev_b32_e32 v137, 16, v132
	v_fmac_f16_e32 v1, v126, v7
	v_pack_b32_f16 v10, v0, v10
	s_wait_loadcnt 0xf
	v_lshrrev_b32_e32 v0, 16, v9
	v_fma_f16 v7, v121, v6, -v11
	v_mul_f16_e32 v6, v13, v6
	ds_store_b32 v87, v4 offset:2500
	ds_store_b32 v87, v10 offset:5000
	v_mul_f16_e64 v4, v137, v9
	v_mul_f16_e64 v11, v137, v0
	v_fmac_f16_e32 v6, v121, v8
	v_pack_b32_f16 v13, v1, v5
	s_wait_loadcnt 0xd
	v_lshrrev_b32_e32 v15, 16, v112
	v_fma_f16 v8, v132, v0, -v4
	v_add_co_u32 v0, vcc_lo, v2, s2
	s_wait_alu 0xfffd
	v_add_co_ci_u32_e32 v1, vcc_lo, s3, v3, vcc_lo
	v_fmac_f16_e64 v11, v132, v9
	s_delay_alu instid0(VALU_DEP_3) | instskip(SKIP_1) | instid1(VALU_DEP_3)
	v_add_co_u32 v4, vcc_lo, v0, s2
	s_wait_alu 0xfffd
	v_add_co_ci_u32_e32 v5, vcc_lo, s3, v1, vcc_lo
	v_pack_b32_f16 v9, v6, v7
	s_delay_alu instid0(VALU_DEP_3) | instskip(SKIP_1) | instid1(VALU_DEP_3)
	v_add_co_u32 v6, vcc_lo, v4, s8
	s_wait_alu 0xfffd
	v_add_co_ci_u32_e32 v7, vcc_lo, s9, v5, vcc_lo
	v_pack_b32_f16 v10, v11, v8
	s_delay_alu instid0(VALU_DEP_3)
	v_add_co_u32 v8, vcc_lo, v6, s2
	ds_store_b32 v87, v13 offset:7500
	ds_store_b32 v87, v9 offset:10000
	s_wait_alu 0xfffd
	v_add_co_ci_u32_e32 v9, vcc_lo, s3, v7, vcc_lo
	ds_store_2addr_b32 v87, v14, v10 offset1:125
	v_add_co_u32 v10, vcc_lo, v8, s2
	global_load_b32 v8, v[8:9], off
	v_lshrrev_b32_e32 v14, 16, v116
	s_wait_alu 0xfffd
	v_add_co_ci_u32_e32 v11, vcc_lo, s3, v9, vcc_lo
	s_wait_loadcnt 0x1
	v_lshrrev_b32_e32 v9, 16, v12
	v_mul_f16_e32 v13, v14, v12
	s_delay_alu instid0(VALU_DEP_1) | instskip(SKIP_1) | instid1(VALU_DEP_1)
	v_fma_f16 v13, v116, v9, -v13
	v_mul_f16_e32 v9, v14, v9
	v_fmac_f16_e32 v9, v116, v12
	s_wait_loadcnt 0x0
	v_lshrrev_b32_e32 v12, 16, v8
	v_mul_f16_e32 v14, v15, v8
	s_delay_alu instid0(VALU_DEP_1) | instskip(SKIP_2) | instid1(VALU_DEP_2)
	v_fma_f16 v14, v112, v12, -v14
	v_mul_f16_e32 v12, v15, v12
	v_lshrrev_b32_e32 v15, 16, v103
	v_fmac_f16_e32 v12, v112, v8
	v_pack_b32_f16 v8, v9, v13
	v_lshrrev_b32_e32 v13, 16, v104
	s_delay_alu instid0(VALU_DEP_3)
	v_pack_b32_f16 v9, v12, v14
	v_lshrrev_b32_e32 v12, 16, v125
	ds_store_2addr_b32 v129, v8, v9 offset0:110 offset1:235
	global_load_b32 v8, v[2:3], off
	global_load_b32 v9, v[10:11], off
	v_add_co_u32 v2, vcc_lo, v10, s2
	s_wait_alu 0xfffd
	v_add_co_ci_u32_e32 v3, vcc_lo, s3, v11, vcc_lo
	s_wait_loadcnt 0x1
	v_lshrrev_b32_e32 v10, 16, v8
	v_mul_f16_e32 v11, v12, v8
	s_delay_alu instid0(VALU_DEP_1) | instskip(SKIP_3) | instid1(VALU_DEP_2)
	v_fma_f16 v11, v125, v10, -v11
	v_mul_f16_e32 v10, v12, v10
	s_wait_loadcnt 0x0
	v_mul_f16_e32 v12, v13, v9
	v_fmac_f16_e32 v10, v125, v8
	v_lshrrev_b32_e32 v8, 16, v9
	s_delay_alu instid0(VALU_DEP_1) | instskip(SKIP_1) | instid1(VALU_DEP_1)
	v_fma_f16 v12, v104, v8, -v12
	v_mul_f16_e32 v8, v13, v8
	v_fmac_f16_e32 v8, v104, v9
	v_pack_b32_f16 v9, v10, v11
	s_delay_alu instid0(VALU_DEP_2)
	v_pack_b32_f16 v8, v8, v12
	ds_store_2addr_b32 v147, v9, v8 offset0:95 offset1:220
	global_load_b32 v8, v[0:1], off
	v_add_co_u32 v0, vcc_lo, v2, s2
	global_load_b32 v2, v[2:3], off
	s_clause 0x2
	global_load_b32 v113, v87, s[4:5] offset:8000
	global_load_b32 v109, v87, s[4:5] offset:8500
	;; [unrolled: 1-line block ×3, first 2 shown]
	s_wait_alu 0xfffd
	v_add_co_ci_u32_e32 v1, vcc_lo, s3, v3, vcc_lo
	global_load_b32 v4, v[4:5], off
	s_wait_loadcnt 0x5
	v_lshrrev_b32_e32 v3, 16, v8
	s_wait_loadcnt 0x3
	v_lshrrev_b32_e32 v10, 16, v113
	;; [unrolled: 2-line block ×3, first 2 shown]
	s_delay_alu instid0(VALU_DEP_2) | instskip(NEXT) | instid1(VALU_DEP_1)
	v_mul_f16_e32 v9, v10, v8
	v_fma_f16 v9, v113, v3, -v9
	v_mul_f16_e32 v3, v10, v3
	s_delay_alu instid0(VALU_DEP_4) | instskip(NEXT) | instid1(VALU_DEP_2)
	v_mul_f16_e32 v10, v11, v2
	v_fmac_f16_e32 v3, v113, v8
	v_lshrrev_b32_e32 v8, 16, v2
	s_delay_alu instid0(VALU_DEP_1) | instskip(SKIP_1) | instid1(VALU_DEP_1)
	v_fma_f16 v10, v109, v8, -v10
	v_mul_f16_e32 v8, v11, v8
	v_fmac_f16_e32 v8, v109, v2
	v_pack_b32_f16 v2, v3, v9
	v_lshrrev_b32_e32 v9, 16, v90
	s_delay_alu instid0(VALU_DEP_3)
	v_pack_b32_f16 v3, v8, v10
	v_lshrrev_b32_e32 v8, 16, v119
	ds_store_2addr_b32 v122, v2, v3 offset0:80 offset1:205
	v_add_co_u32 v2, vcc_lo, v0, s8
	global_load_b32 v0, v[0:1], off
	s_wait_alu 0xfffd
	v_add_co_ci_u32_e32 v3, vcc_lo, s9, v1, vcc_lo
	s_wait_loadcnt 0x1
	v_lshrrev_b32_e32 v1, 16, v4
	v_mul_f16_e32 v5, v8, v4
	s_delay_alu instid0(VALU_DEP_1) | instskip(SKIP_1) | instid1(VALU_DEP_1)
	v_fma_f16 v5, v119, v1, -v5
	v_mul_f16_e32 v1, v8, v1
	v_fmac_f16_e32 v1, v119, v4
	s_wait_loadcnt 0x0
	v_lshrrev_b32_e32 v4, 16, v0
	v_mul_f16_e32 v8, v9, v0
	s_delay_alu instid0(VALU_DEP_1) | instskip(SKIP_1) | instid1(VALU_DEP_1)
	v_fma_f16 v8, v90, v4, -v8
	v_mul_f16_e32 v4, v9, v4
	v_fmac_f16_e32 v4, v90, v0
	v_pack_b32_f16 v0, v1, v5
	s_delay_alu instid0(VALU_DEP_2)
	v_pack_b32_f16 v1, v4, v8
	global_load_b32 v4, v[6:7], off
	v_lshrrev_b32_e32 v6, 16, v108
	v_lshrrev_b32_e32 v7, 16, v105
	ds_store_2addr_b32 v130, v0, v1 offset0:65 offset1:190
	v_add_co_u32 v0, vcc_lo, v2, s2
	global_load_b32 v2, v[2:3], off
	s_wait_alu 0xfffd
	v_add_co_ci_u32_e32 v1, vcc_lo, s3, v3, vcc_lo
	global_load_b32 v12, v[0:1], off
	s_wait_loadcnt 0x2
	v_lshrrev_b32_e32 v3, 16, v4
	v_mul_f16_e32 v5, v6, v4
	s_delay_alu instid0(VALU_DEP_1) | instskip(SKIP_3) | instid1(VALU_DEP_2)
	v_fma_f16 v5, v108, v3, -v5
	v_mul_f16_e32 v3, v6, v3
	s_wait_loadcnt 0x1
	v_mul_f16_e32 v6, v7, v2
	v_fmac_f16_e32 v3, v108, v4
	v_lshrrev_b32_e32 v4, 16, v2
	s_delay_alu instid0(VALU_DEP_1) | instskip(SKIP_1) | instid1(VALU_DEP_1)
	v_fma_f16 v6, v105, v4, -v6
	v_mul_f16_e32 v4, v7, v4
	v_fmac_f16_e32 v4, v105, v2
	v_pack_b32_f16 v2, v3, v5
	s_delay_alu instid0(VALU_DEP_2) | instskip(SKIP_4) | instid1(VALU_DEP_2)
	v_pack_b32_f16 v3, v4, v6
	ds_store_2addr_b32 v117, v2, v3 offset0:122 offset1:247
	v_add_co_u32 v2, vcc_lo, v0, s2
	s_wait_alu 0xfffd
	v_add_co_ci_u32_e32 v3, vcc_lo, s3, v1, vcc_lo
	v_add_co_u32 v0, vcc_lo, v2, s2
	s_wait_alu 0xfffd
	s_delay_alu instid0(VALU_DEP_2) | instskip(NEXT) | instid1(VALU_DEP_2)
	v_add_co_ci_u32_e32 v1, vcc_lo, s3, v3, vcc_lo
	v_add_co_u32 v4, vcc_lo, v0, s2
	s_wait_alu 0xfffd
	s_delay_alu instid0(VALU_DEP_2) | instskip(NEXT) | instid1(VALU_DEP_2)
	;; [unrolled: 4-line block ×4, first 2 shown]
	v_add_co_ci_u32_e32 v9, vcc_lo, s3, v7, vcc_lo
	v_add_co_u32 v10, vcc_lo, v8, s2
	global_load_b32 v8, v[8:9], off
	global_load_b32 v99, v87, s[4:5] offset:4000
	s_wait_alu 0xfffd
	v_add_co_ci_u32_e32 v11, vcc_lo, s3, v9, vcc_lo
	s_wait_loadcnt 0x2
	v_lshrrev_b32_e32 v9, 16, v12
	s_wait_loadcnt 0x0
	v_lshrrev_b32_e32 v14, 16, v99
	s_delay_alu instid0(VALU_DEP_1) | instskip(NEXT) | instid1(VALU_DEP_1)
	v_mul_f16_e32 v13, v14, v12
	v_fma_f16 v13, v99, v9, -v13
	v_mul_f16_e32 v9, v14, v9
	v_mul_f16_e32 v14, v15, v8
	s_delay_alu instid0(VALU_DEP_2) | instskip(SKIP_1) | instid1(VALU_DEP_1)
	v_fmac_f16_e32 v9, v99, v12
	v_lshrrev_b32_e32 v12, 16, v8
	v_fma_f16 v14, v103, v12, -v14
	v_mul_f16_e32 v12, v15, v12
	s_delay_alu instid0(VALU_DEP_1) | instskip(SKIP_2) | instid1(VALU_DEP_3)
	v_fmac_f16_e32 v12, v103, v8
	v_pack_b32_f16 v8, v9, v13
	v_lshrrev_b32_e32 v13, 16, v111
	v_pack_b32_f16 v9, v12, v14
	v_lshrrev_b32_e32 v12, 16, v98
	ds_store_2addr_b32 v101, v8, v9 offset0:104 offset1:229
	global_load_b32 v8, v[2:3], off
	global_load_b32 v9, v[10:11], off
	v_add_co_u32 v2, vcc_lo, v10, s2
	s_wait_alu 0xfffd
	v_add_co_ci_u32_e32 v3, vcc_lo, s3, v11, vcc_lo
	s_wait_loadcnt 0x1
	v_lshrrev_b32_e32 v10, 16, v8
	v_mul_f16_e32 v11, v12, v8
	s_delay_alu instid0(VALU_DEP_1) | instskip(SKIP_3) | instid1(VALU_DEP_2)
	v_fma_f16 v11, v98, v10, -v11
	v_mul_f16_e32 v10, v12, v10
	s_wait_loadcnt 0x0
	v_mul_f16_e32 v12, v13, v9
	v_fmac_f16_e32 v10, v98, v8
	v_lshrrev_b32_e32 v8, 16, v9
	s_delay_alu instid0(VALU_DEP_1) | instskip(SKIP_1) | instid1(VALU_DEP_1)
	v_fma_f16 v12, v111, v8, -v12
	v_mul_f16_e32 v8, v13, v8
	v_fmac_f16_e32 v8, v111, v9
	v_pack_b32_f16 v9, v10, v11
	v_lshrrev_b32_e32 v10, 16, v92
	v_lshrrev_b32_e32 v11, 16, v115
	s_delay_alu instid0(VALU_DEP_4)
	v_pack_b32_f16 v8, v8, v12
	ds_store_2addr_b32 v134, v9, v8 offset0:89 offset1:214
	global_load_b32 v8, v[0:1], off
	v_add_co_u32 v0, vcc_lo, v2, s2
	global_load_b32 v2, v[2:3], off
	s_wait_alu 0xfffd
	v_add_co_ci_u32_e32 v1, vcc_lo, s3, v3, vcc_lo
	s_wait_loadcnt 0x1
	v_lshrrev_b32_e32 v3, 16, v8
	v_mul_f16_e32 v9, v10, v8
	s_delay_alu instid0(VALU_DEP_1) | instskip(SKIP_3) | instid1(VALU_DEP_2)
	v_fma_f16 v9, v92, v3, -v9
	v_mul_f16_e32 v3, v10, v3
	s_wait_loadcnt 0x0
	v_mul_f16_e32 v10, v11, v2
	v_fmac_f16_e32 v3, v92, v8
	v_lshrrev_b32_e32 v8, 16, v2
	s_delay_alu instid0(VALU_DEP_1) | instskip(SKIP_1) | instid1(VALU_DEP_1)
	v_fma_f16 v10, v115, v8, -v10
	v_mul_f16_e32 v8, v11, v8
	v_fmac_f16_e32 v8, v115, v2
	v_pack_b32_f16 v2, v3, v9
	s_delay_alu instid0(VALU_DEP_2)
	v_pack_b32_f16 v3, v8, v10
	ds_store_2addr_b32 v96, v2, v3 offset0:74 offset1:199
	global_load_b32 v2, v[4:5], off
	global_load_b32 v0, v[0:1], off
	global_load_b32 v107, v87, s[4:5] offset:12000
	v_lshrrev_b32_e32 v4, 16, v95
	s_load_b128 s[8:11], s[10:11], 0x0
	s_wait_loadcnt 0x2
	v_lshrrev_b32_e32 v1, 16, v2
	s_delay_alu instid0(VALU_DEP_2) | instskip(SKIP_2) | instid1(VALU_DEP_2)
	v_mul_f16_e32 v3, v4, v2
	s_wait_loadcnt 0x0
	v_lshrrev_b32_e32 v5, 16, v107
	v_fma_f16 v3, v95, v1, -v3
	v_mul_f16_e32 v1, v4, v1
	s_delay_alu instid0(VALU_DEP_3) | instskip(NEXT) | instid1(VALU_DEP_2)
	v_mul_f16_e32 v4, v5, v0
	v_fmac_f16_e32 v1, v95, v2
	v_lshrrev_b32_e32 v2, 16, v0
	s_delay_alu instid0(VALU_DEP_1) | instskip(SKIP_1) | instid1(VALU_DEP_1)
	v_fma_f16 v4, v107, v2, -v4
	v_mul_f16_e32 v2, v5, v2
	v_fmac_f16_e32 v2, v107, v0
	v_pack_b32_f16 v0, v1, v3
	v_lshrrev_b32_e32 v3, 16, v100
	s_delay_alu instid0(VALU_DEP_3)
	v_pack_b32_f16 v1, v2, v4
	ds_store_2addr_b32 v127, v0, v1 offset0:59 offset1:184
	global_load_b32 v0, v[6:7], off
	s_wait_loadcnt 0x0
	v_lshrrev_b32_e32 v1, 16, v0
	v_mul_f16_e32 v2, v3, v0
	s_delay_alu instid0(VALU_DEP_1) | instskip(SKIP_1) | instid1(VALU_DEP_1)
	v_fma_f16 v2, v100, v1, -v2
	v_mul_f16_e32 v1, v3, v1
	v_fmac_f16_e32 v1, v100, v0
	s_delay_alu instid0(VALU_DEP_1)
	v_pack_b32_f16 v0, v1, v2
	ds_store_b32 v87, v0 offset:2000
	global_wb scope:SCOPE_SE
	s_wait_dscnt 0x0
	s_wait_kmcnt 0x0
	s_barrier_signal -1
	s_barrier_wait -1
	global_inv scope:SCOPE_SE
	ds_load_2addr_b32 v[2:3], v141 offset0:98 offset1:223
	ds_load_2addr_b32 v[0:1], v122 offset0:80 offset1:205
	ds_load_2addr_b32 v[12:13], v87 offset1:125
	s_wait_dscnt 0x2
	v_lshrrev_b32_e32 v18, 16, v3
	s_wait_dscnt 0x1
	v_add_f16_e32 v4, v3, v0
	s_wait_dscnt 0x0
	v_lshrrev_b32_e32 v33, 16, v13
	v_lshrrev_b32_e32 v17, 16, v0
	v_sub_f16_e32 v28, v3, v0
	v_lshrrev_b32_e32 v35, 16, v12
	v_fma_f16 v14, -0.5, v4, v13
	ds_load_2addr_b32 v[6:7], v139 offset0:68 offset1:193
	ds_load_2addr_b32 v[4:5], v129 offset0:110 offset1:235
	v_sub_f16_e32 v21, v18, v17
	s_wait_dscnt 0x1
	v_sub_f16_e32 v9, v0, v7
	s_wait_dscnt 0x0
	v_add_f16_e32 v8, v4, v7
	v_add_f16_e32 v19, v13, v4
	v_lshrrev_b32_e32 v22, 16, v4
	v_lshrrev_b32_e32 v20, 16, v7
	v_sub_f16_e32 v29, v4, v7
	v_fmac_f16_e32 v13, -0.5, v8
	v_sub_f16_e32 v8, v3, v4
	v_add_f16_e32 v23, v33, v22
	v_sub_f16_e32 v26, v22, v20
	v_lshrrev_b32_e32 v60, 16, v6
	v_fmamk_f16 v27, v21, 0xbb9c, v13
	v_add_f16_e32 v15, v8, v9
	v_add_f16_e32 v8, v18, v17
	v_sub_f16_e32 v9, v17, v20
	v_fmac_f16_e32 v13, 0x3b9c, v21
	v_fmac_f16_e32 v27, 0x38b4, v26
	s_delay_alu instid0(VALU_DEP_4) | instskip(SKIP_1) | instid1(VALU_DEP_4)
	v_fma_f16 v16, -0.5, v8, v33
	v_add_f16_e32 v8, v22, v20
	v_fmac_f16_e32 v13, 0xb8b4, v26
	s_delay_alu instid0(VALU_DEP_4) | instskip(NEXT) | instid1(VALU_DEP_3)
	v_fmac_f16_e32 v27, 0x34f2, v15
	v_fmac_f16_e32 v33, -0.5, v8
	v_sub_f16_e32 v8, v18, v22
	s_delay_alu instid0(VALU_DEP_4) | instskip(NEXT) | instid1(VALU_DEP_3)
	v_fmac_f16_e32 v13, 0x34f2, v15
	v_fmamk_f16 v30, v28, 0x3b9c, v33
	s_delay_alu instid0(VALU_DEP_3) | instskip(SKIP_3) | instid1(VALU_DEP_2)
	v_add_f16_e32 v25, v8, v9
	ds_load_2addr_b32 v[8:9], v142 offset0:86 offset1:211
	v_fmac_f16_e32 v33, 0xbb9c, v28
	v_fmac_f16_e32 v30, 0xb8b4, v29
	;; [unrolled: 1-line block ×3, first 2 shown]
	s_delay_alu instid0(VALU_DEP_2) | instskip(NEXT) | instid1(VALU_DEP_2)
	v_fmac_f16_e32 v30, 0x34f2, v25
	v_fmac_f16_e32 v33, 0x34f2, v25
	s_delay_alu instid0(VALU_DEP_1) | instskip(SKIP_3) | instid1(VALU_DEP_2)
	v_pack_b32_f16 v39, v13, v33
	s_wait_dscnt 0x0
	v_add_f16_e32 v10, v2, v9
	v_lshrrev_b32_e32 v44, 16, v8
	v_fma_f16 v31, -0.5, v10, v12
	ds_load_2addr_b32 v[10:11], v143 offset0:116 offset1:241
	s_wait_dscnt 0x0
	v_add_f16_e32 v32, v11, v6
	v_add_f16_e32 v36, v12, v11
	v_lshrrev_b32_e32 v38, 16, v10
	v_sub_f16_e32 v58, v11, v6
	s_delay_alu instid0(VALU_DEP_4)
	v_fma_f16 v32, -0.5, v32, v12
	ds_load_2addr_b32 v[12:13], v96 offset0:74 offset1:199
	s_wait_dscnt 0x0
	v_add_f16_e32 v33, v8, v13
	v_lshrrev_b32_e32 v45, 16, v13
	v_sub_f16_e32 v53, v8, v13
	s_delay_alu instid0(VALU_DEP_3)
	v_fma_f16 v40, -0.5, v33, v10
	ds_load_b32 v41, v87 offset:12000
	ds_load_2addr_b32 v[33:34], v101 offset0:104 offset1:229
	v_sub_f16_e32 v51, v44, v45
	s_wait_dscnt 0x1
	v_sub_f16_e32 v43, v13, v41
	s_wait_dscnt 0x0
	v_add_f16_e32 v37, v34, v41
	v_add_f16_e32 v42, v10, v34
	v_lshrrev_b32_e32 v47, 16, v34
	v_lshrrev_b32_e32 v48, 16, v41
	v_sub_f16_e32 v56, v34, v41
	v_fmac_f16_e32 v10, -0.5, v37
	v_sub_f16_e32 v37, v8, v34
	v_add_f16_e32 v49, v38, v47
	v_sub_f16_e32 v50, v45, v48
	v_sub_f16_e32 v55, v47, v48
	v_fmamk_f16 v52, v51, 0xbb9c, v10
	v_add_f16_e32 v43, v37, v43
	v_add_f16_e32 v37, v44, v45
	v_fmac_f16_e32 v10, 0x3b9c, v51
	v_add_f16_e32 v42, v42, v8
	v_sub_f16_e32 v8, v34, v8
	v_fmac_f16_e32 v52, 0x38b4, v55
	v_fma_f16 v46, -0.5, v37, v38
	v_add_f16_e32 v37, v47, v48
	v_fmac_f16_e32 v10, 0xb8b4, v55
	s_delay_alu instid0(VALU_DEP_4) | instskip(NEXT) | instid1(VALU_DEP_3)
	v_fmac_f16_e32 v52, 0x34f2, v43
	v_fmac_f16_e32 v38, -0.5, v37
	v_sub_f16_e32 v37, v44, v47
	s_delay_alu instid0(VALU_DEP_4) | instskip(NEXT) | instid1(VALU_DEP_3)
	v_fmac_f16_e32 v10, 0x34f2, v43
	v_fmamk_f16 v54, v53, 0x3b9c, v38
	v_fmac_f16_e32 v38, 0xbb9c, v53
	s_delay_alu instid0(VALU_DEP_4) | instskip(SKIP_1) | instid1(VALU_DEP_4)
	v_add_f16_e32 v50, v37, v50
	v_lshrrev_b32_e32 v37, 16, v11
	v_fmac_f16_e32 v54, 0xb8b4, v56
	s_delay_alu instid0(VALU_DEP_4) | instskip(NEXT) | instid1(VALU_DEP_3)
	v_fmac_f16_e32 v38, 0x38b4, v56
	v_add_f16_e32 v63, v37, v60
	v_add_f16_e32 v64, v35, v37
	v_sub_f16_e32 v65, v37, v60
	s_delay_alu instid0(VALU_DEP_4) | instskip(SKIP_1) | instid1(VALU_DEP_2)
	v_fmac_f16_e32 v38, 0x34f2, v50
	v_fmac_f16_e32 v54, 0x34f2, v50
	v_pack_b32_f16 v57, v10, v38
	v_sub_f16_e32 v10, v11, v2
	v_sub_f16_e32 v38, v6, v9
	;; [unrolled: 1-line block ×3, first 2 shown]
	s_delay_alu instid0(VALU_DEP_2) | instskip(SKIP_2) | instid1(VALU_DEP_2)
	v_add_f16_e32 v59, v10, v38
	v_sub_f16_e32 v10, v9, v6
	v_lshrrev_b32_e32 v38, 16, v9
	v_add_f16_e32 v10, v11, v10
	v_lshrrev_b32_e32 v11, 16, v2
	s_delay_alu instid0(VALU_DEP_3) | instskip(NEXT) | instid1(VALU_DEP_2)
	v_sub_f16_e32 v62, v60, v38
	v_sub_f16_e32 v61, v37, v11
	s_delay_alu instid0(VALU_DEP_1) | instskip(SKIP_1) | instid1(VALU_DEP_1)
	v_add_f16_e32 v61, v61, v62
	v_add_f16_e32 v62, v11, v38
	v_fma_f16 v62, -0.5, v62, v35
	v_fmac_f16_e32 v35, -0.5, v63
	v_add_f16_e32 v63, v64, v11
	v_sub_f16_e32 v64, v11, v38
	v_sub_f16_e32 v11, v11, v37
	s_delay_alu instid0(VALU_DEP_3) | instskip(SKIP_1) | instid1(VALU_DEP_2)
	v_add_f16_e32 v63, v63, v38
	v_sub_f16_e32 v38, v38, v60
	v_add_f16_e32 v37, v63, v60
	s_delay_alu instid0(VALU_DEP_2) | instskip(SKIP_2) | instid1(VALU_DEP_2)
	v_add_f16_e32 v11, v11, v38
	v_fmamk_f16 v38, v64, 0xbb9c, v32
	v_fmac_f16_e32 v32, 0x3b9c, v64
	v_fmac_f16_e32 v38, 0x38b4, v65
	s_delay_alu instid0(VALU_DEP_2) | instskip(NEXT) | instid1(VALU_DEP_2)
	v_fmac_f16_e32 v32, 0xb8b4, v65
	v_fmac_f16_e32 v38, 0x34f2, v10
	s_delay_alu instid0(VALU_DEP_2) | instskip(SKIP_2) | instid1(VALU_DEP_2)
	v_fmac_f16_e32 v32, 0x34f2, v10
	v_add_f16_e32 v10, v36, v2
	v_sub_f16_e32 v2, v2, v9
	v_add_f16_e32 v10, v10, v9
	s_delay_alu instid0(VALU_DEP_2) | instskip(SKIP_1) | instid1(VALU_DEP_3)
	v_fmamk_f16 v9, v2, 0x3b9c, v35
	v_fmac_f16_e32 v35, 0xbb9c, v2
	v_add_f16_e32 v6, v10, v6
	s_delay_alu instid0(VALU_DEP_3) | instskip(NEXT) | instid1(VALU_DEP_3)
	v_fmac_f16_e32 v9, 0xb8b4, v58
	v_fmac_f16_e32 v35, 0x38b4, v58
	v_fmamk_f16 v10, v65, 0x3b9c, v31
	v_fmac_f16_e32 v31, 0xbb9c, v65
	v_pack_b32_f16 v6, v6, v37
	v_fmac_f16_e32 v9, 0x34f2, v11
	v_fmac_f16_e32 v35, 0x34f2, v11
	v_fmamk_f16 v11, v58, 0xbb9c, v62
	v_fmac_f16_e32 v10, 0x38b4, v64
	v_fmac_f16_e32 v62, 0x3b9c, v58
	v_pack_b32_f16 v60, v38, v9
	v_mul_lo_u16 v9, v24, 5
	v_fmac_f16_e32 v11, 0xb8b4, v2
	v_fmac_f16_e32 v10, 0x34f2, v59
	v_pack_b32_f16 v32, v32, v35
	v_fmac_f16_e32 v31, 0xb8b4, v64
	v_and_b32_e32 v9, 0xffff, v9
	v_fmac_f16_e32 v11, 0x34f2, v61
	v_fmac_f16_e32 v62, 0x38b4, v2
	v_add_co_u32 v65, null, 0xfa, v138
	s_delay_alu instid0(VALU_DEP_4) | instskip(NEXT) | instid1(VALU_DEP_4)
	v_lshlrev_b32_e32 v151, 2, v9
	v_pack_b32_f16 v11, v10, v11
	ds_load_2addr_b32 v[9:10], v117 offset0:122 offset1:247
	ds_load_2addr_b32 v[35:36], v124 offset0:92 offset1:217
	;; [unrolled: 1-line block ×3, first 2 shown]
	global_wb scope:SCOPE_SE
	s_wait_dscnt 0x0
	s_barrier_signal -1
	s_barrier_wait -1
	global_inv scope:SCOPE_SE
	ds_store_2addr_b32 v151, v6, v11 offset1:1
	v_add_f16_e32 v6, v19, v3
	v_sub_f16_e32 v3, v4, v3
	v_fmac_f16_e32 v31, 0x34f2, v59
	v_fmac_f16_e32 v62, 0x34f2, v61
	v_pack_b32_f16 v11, v27, v30
	v_add_f16_e32 v4, v6, v0
	v_sub_f16_e32 v0, v7, v0
	v_add_f16_e32 v6, v23, v18
	v_pack_b32_f16 v2, v31, v62
	ds_store_2addr_b32 v151, v60, v32 offset0:2 offset1:3
	v_add_f16_e32 v4, v4, v7
	v_add_f16_e32 v0, v3, v0
	;; [unrolled: 1-line block ×3, first 2 shown]
	ds_store_b32 v151, v2 offset:16
	v_sub_f16_e32 v7, v22, v18
	v_sub_f16_e32 v6, v20, v17
	v_lshrrev_b32_e32 v17, 16, v10
	v_add_f16_e32 v3, v3, v20
	v_add_f16_e32 v18, v10, v33
	v_sub_f16_e32 v19, v12, v38
	v_add_f16_e32 v7, v7, v6
	v_fmamk_f16 v6, v29, 0xbb9c, v16
	v_pack_b32_f16 v3, v4, v3
	v_fmamk_f16 v4, v26, 0x3b9c, v14
	v_fmac_f16_e32 v14, 0xbb9c, v26
	v_fmac_f16_e32 v16, 0x3b9c, v29
	;; [unrolled: 1-line block ×3, first 2 shown]
	v_lshrrev_b32_e32 v20, 16, v12
	v_fmac_f16_e32 v4, 0x38b4, v21
	v_fmac_f16_e32 v14, 0xb8b4, v21
	;; [unrolled: 1-line block ×4, first 2 shown]
	v_lshrrev_b32_e32 v22, 16, v33
	v_fmac_f16_e32 v4, 0x34f2, v0
	v_fmac_f16_e32 v14, 0x34f2, v0
	;; [unrolled: 1-line block ×3, first 2 shown]
	v_lshrrev_b32_e32 v7, 16, v1
	v_lshrrev_b32_e32 v23, 16, v38
	v_pack_b32_f16 v4, v4, v6
	v_add_co_u32 v6, null, 0x7d, v138
	v_pack_b32_f16 v0, v14, v16
	v_add_f16_e32 v16, v33, v38
	v_add_f16_e32 v25, v22, v23
	s_delay_alu instid0(VALU_DEP_4)
	v_mul_u32_u24_e32 v2, 5, v6
	v_add_f16_e32 v26, v17, v22
	v_sub_f16_e32 v27, v20, v23
	v_sub_f16_e32 v30, v36, v12
	;; [unrolled: 1-line block ×3, first 2 shown]
	v_lshlrev_b32_e32 v149, 2, v2
	v_sub_f16_e32 v2, v5, v35
	v_sub_f16_e32 v32, v33, v38
	v_add_f16_e32 v58, v5, v37
	v_sub_f16_e32 v59, v35, v1
	ds_store_2addr_b32 v149, v3, v4 offset1:1
	ds_store_2addr_b32 v149, v11, v39 offset0:2 offset1:3
	ds_store_b32 v149, v0 offset:16
	v_sub_f16_e32 v3, v37, v1
	v_lshrrev_b32_e32 v4, 16, v35
	v_lshrrev_b32_e32 v11, 16, v37
	v_add_f16_e32 v39, v35, v1
	v_fma_f16 v58, -0.5, v58, v9
	v_add_f16_e32 v2, v2, v3
	v_lshrrev_b32_e32 v3, 16, v5
	v_sub_f16_e32 v15, v11, v7
	v_fma_f16 v39, -0.5, v39, v9
	v_sub_f16_e32 v34, v35, v5
	v_add_f16_e32 v18, v18, v36
	v_sub_f16_e32 v14, v3, v4
	v_add_co_u32 v64, null, 0x177, v138
	s_delay_alu instid0(VALU_DEP_2) | instskip(SKIP_1) | instid1(VALU_DEP_1)
	v_add_f16_e32 v14, v14, v15
	v_add_f16_e32 v15, v36, v12
	v_fma_f16 v15, -0.5, v15, v10
	v_fmac_f16_e32 v10, -0.5, v16
	v_sub_f16_e32 v16, v36, v33
	v_sub_f16_e32 v33, v33, v36
	s_delay_alu instid0(VALU_DEP_2) | instskip(SKIP_2) | instid1(VALU_DEP_2)
	v_add_f16_e32 v16, v16, v19
	v_lshrrev_b32_e32 v19, 16, v36
	v_add_f16_e32 v36, v3, v11
	v_add_f16_e32 v21, v19, v20
	s_delay_alu instid0(VALU_DEP_1) | instskip(SKIP_2) | instid1(VALU_DEP_2)
	v_fma_f16 v21, -0.5, v21, v17
	v_fmac_f16_e32 v17, -0.5, v25
	v_sub_f16_e32 v25, v19, v22
	v_fmamk_f16 v31, v30, 0x3b9c, v17
	s_delay_alu instid0(VALU_DEP_2) | instskip(SKIP_2) | instid1(VALU_DEP_4)
	v_add_f16_e32 v25, v25, v27
	v_sub_f16_e32 v27, v19, v20
	v_fmac_f16_e32 v17, 0xbb9c, v30
	v_fmac_f16_e32 v31, 0xb8b4, v32
	s_delay_alu instid0(VALU_DEP_3) | instskip(SKIP_1) | instid1(VALU_DEP_4)
	v_fmamk_f16 v28, v27, 0xbb9c, v10
	v_fmac_f16_e32 v10, 0x3b9c, v27
	v_fmac_f16_e32 v17, 0x38b4, v32
	s_delay_alu instid0(VALU_DEP_4) | instskip(NEXT) | instid1(VALU_DEP_4)
	v_fmac_f16_e32 v31, 0x34f2, v25
	v_fmac_f16_e32 v28, 0x38b4, v29
	s_delay_alu instid0(VALU_DEP_4) | instskip(NEXT) | instid1(VALU_DEP_4)
	v_fmac_f16_e32 v10, 0xb8b4, v29
	v_fmac_f16_e32 v17, 0x34f2, v25
	v_and_b32_e32 v25, 0xffff, v65
	s_delay_alu instid0(VALU_DEP_4) | instskip(NEXT) | instid1(VALU_DEP_4)
	v_fmac_f16_e32 v28, 0x34f2, v16
	v_fmac_f16_e32 v10, 0x34f2, v16
	s_delay_alu instid0(VALU_DEP_1) | instskip(SKIP_3) | instid1(VALU_DEP_3)
	v_pack_b32_f16 v10, v10, v17
	v_add_f16_e32 v17, v9, v5
	v_lshrrev_b32_e32 v9, 16, v9
	v_sub_f16_e32 v5, v5, v37
	v_add_f16_e32 v17, v17, v35
	s_delay_alu instid0(VALU_DEP_3) | instskip(NEXT) | instid1(VALU_DEP_2)
	v_add_f16_e32 v35, v9, v3
	v_add_f16_e32 v17, v17, v1
	s_delay_alu instid0(VALU_DEP_2) | instskip(SKIP_1) | instid1(VALU_DEP_3)
	v_add_f16_e32 v35, v35, v4
	v_sub_f16_e32 v1, v1, v37
	v_add_f16_e32 v17, v17, v37
	s_delay_alu instid0(VALU_DEP_3) | instskip(NEXT) | instid1(VALU_DEP_3)
	v_add_f16_e32 v35, v35, v7
	v_add_f16_e32 v1, v34, v1
	;; [unrolled: 1-line block ×3, first 2 shown]
	s_delay_alu instid0(VALU_DEP_3) | instskip(NEXT) | instid1(VALU_DEP_1)
	v_add_f16_e32 v35, v35, v11
	v_pack_b32_f16 v17, v17, v35
	v_sub_f16_e32 v35, v4, v7
	v_sub_f16_e32 v4, v4, v3
	;; [unrolled: 1-line block ×4, first 2 shown]
	v_fma_f16 v11, -0.5, v34, v9
	v_fmamk_f16 v34, v35, 0xbb9c, v58
	v_fmac_f16_e32 v58, 0x3b9c, v35
	v_fmac_f16_e32 v9, -0.5, v36
	s_delay_alu instid0(VALU_DEP_3) | instskip(NEXT) | instid1(VALU_DEP_3)
	v_fmac_f16_e32 v34, 0x38b4, v3
	v_fmac_f16_e32 v58, 0xb8b4, v3
	s_delay_alu instid0(VALU_DEP_2) | instskip(NEXT) | instid1(VALU_DEP_2)
	v_fmac_f16_e32 v34, 0x34f2, v1
	v_fmac_f16_e32 v58, 0x34f2, v1
	v_add_f16_e32 v1, v4, v7
	v_fmamk_f16 v4, v59, 0x3b9c, v9
	v_fmac_f16_e32 v9, 0xbb9c, v59
	v_fmamk_f16 v7, v5, 0xbb9c, v11
	v_fmac_f16_e32 v11, 0x3b9c, v5
	s_delay_alu instid0(VALU_DEP_4) | instskip(NEXT) | instid1(VALU_DEP_4)
	v_fmac_f16_e32 v4, 0xb8b4, v5
	v_fmac_f16_e32 v9, 0x38b4, v5
	s_delay_alu instid0(VALU_DEP_4) | instskip(NEXT) | instid1(VALU_DEP_4)
	v_fmac_f16_e32 v7, 0xb8b4, v59
	v_fmac_f16_e32 v11, 0x38b4, v59
	v_sub_f16_e32 v5, v23, v20
	v_fmac_f16_e32 v4, 0x34f2, v1
	v_fmac_f16_e32 v9, 0x34f2, v1
	v_fmamk_f16 v1, v3, 0x3b9c, v39
	v_fmac_f16_e32 v7, 0x34f2, v14
	v_fmac_f16_e32 v39, 0xbb9c, v3
	v_pack_b32_f16 v4, v34, v4
	v_pack_b32_f16 v0, v58, v9
	v_fmac_f16_e32 v1, 0x38b4, v35
	v_fmac_f16_e32 v11, 0x34f2, v14
	;; [unrolled: 1-line block ×3, first 2 shown]
	v_add_f16_e32 v3, v26, v19
	v_and_b32_e32 v26, 0xff, v24
	v_fmac_f16_e32 v1, 0x34f2, v2
	s_delay_alu instid0(VALU_DEP_4) | instskip(SKIP_2) | instid1(VALU_DEP_4)
	v_fmac_f16_e32 v39, 0x34f2, v2
	v_sub_f16_e32 v2, v38, v12
	v_add_f16_e32 v3, v3, v20
	v_pack_b32_f16 v1, v1, v7
	v_mul_u32_u24_e32 v7, 5, v65
	s_delay_alu instid0(VALU_DEP_4) | instskip(NEXT) | instid1(VALU_DEP_4)
	v_add_f16_e32 v2, v33, v2
	v_add_f16_e32 v3, v3, v23
	s_delay_alu instid0(VALU_DEP_3)
	v_lshlrev_b32_e32 v153, 2, v7
	v_fmamk_f16 v7, v56, 0xbb9c, v46
	v_fmac_f16_e32 v46, 0x3b9c, v56
	ds_store_2addr_b32 v153, v17, v1 offset1:1
	v_pack_b32_f16 v1, v39, v11
	ds_store_2addr_b32 v153, v4, v0 offset0:2 offset1:3
	v_sub_f16_e32 v4, v22, v19
	v_add_f16_e32 v0, v18, v12
	v_fmac_f16_e32 v7, 0xb8b4, v53
	ds_store_b32 v153, v1 offset:16
	v_fmamk_f16 v1, v29, 0x3b9c, v15
	v_add_f16_e32 v4, v4, v5
	v_fmamk_f16 v5, v32, 0xbb9c, v21
	v_fmac_f16_e32 v15, 0xbb9c, v29
	v_fmac_f16_e32 v21, 0x3b9c, v32
	;; [unrolled: 1-line block ×3, first 2 shown]
	v_add_f16_e32 v0, v0, v38
	v_fmac_f16_e32 v5, 0xb8b4, v30
	v_fmac_f16_e32 v15, 0xb8b4, v27
	;; [unrolled: 1-line block ×4, first 2 shown]
	v_pack_b32_f16 v0, v0, v3
	v_fmac_f16_e32 v5, 0x34f2, v4
	v_pack_b32_f16 v3, v28, v31
	v_fmac_f16_e32 v15, 0x34f2, v2
	v_fmac_f16_e32 v21, 0x34f2, v4
	v_sub_f16_e32 v4, v47, v44
	v_pack_b32_f16 v1, v1, v5
	v_mul_u32_u24_e32 v5, 5, v64
	v_sub_f16_e32 v2, v41, v13
	v_fmac_f16_e32 v46, 0x38b4, v53
	v_and_b32_e32 v27, 0xff, v6
	s_delay_alu instid0(VALU_DEP_4)
	v_lshlrev_b32_e32 v150, 2, v5
	v_sub_f16_e32 v5, v48, v45
	v_add_f16_e32 v2, v8, v2
	ds_store_2addr_b32 v150, v0, v1 offset1:1
	v_pack_b32_f16 v0, v15, v21
	ds_store_2addr_b32 v150, v3, v10 offset0:2 offset1:3
	v_add_f16_e32 v3, v49, v44
	v_add_f16_e32 v1, v42, v13
	;; [unrolled: 1-line block ×3, first 2 shown]
	ds_store_b32 v150, v0 offset:16
	v_fmamk_f16 v5, v55, 0x3b9c, v40
	v_add_f16_e32 v3, v3, v45
	v_add_f16_e32 v1, v1, v41
	v_fmac_f16_e32 v40, 0xbb9c, v55
	v_fmac_f16_e32 v7, 0x34f2, v4
	;; [unrolled: 1-line block ×3, first 2 shown]
	v_add_f16_e32 v3, v3, v48
	v_fmac_f16_e32 v46, 0x34f2, v4
	v_fmac_f16_e32 v40, 0xb8b4, v51
	v_pack_b32_f16 v0, v52, v54
	v_fmac_f16_e32 v5, 0x34f2, v2
	v_pack_b32_f16 v1, v1, v3
	v_mul_u32_u24_e32 v3, 5, v72
	v_fmac_f16_e32 v40, 0x34f2, v2
	v_mul_lo_u16 v2, 0xcd, v27
	v_pack_b32_f16 v5, v5, v7
	s_delay_alu instid0(VALU_DEP_4) | instskip(NEXT) | instid1(VALU_DEP_3)
	v_lshlrev_b32_e32 v148, 2, v3
	v_lshrrev_b16 v2, 10, v2
	ds_store_2addr_b32 v148, v1, v5 offset1:1
	v_pack_b32_f16 v1, v40, v46
	ds_store_2addr_b32 v148, v0, v57 offset0:2 offset1:3
	ds_store_b32 v148, v1 offset:16
	v_mul_lo_u16 v0, 0xcd, v26
	v_mul_lo_u16 v3, v2, 5
	global_wb scope:SCOPE_SE
	s_wait_dscnt 0x0
	s_barrier_signal -1
	s_barrier_wait -1
	v_lshrrev_b16 v1, 10, v0
	v_sub_nc_u16 v3, v6, v3
	global_inv scope:SCOPE_SE
	v_and_b32_e32 v2, 0xffff, v2
	v_mul_lo_u16 v0, v1, 5
	v_and_b32_e32 v1, 0xffff, v1
	s_delay_alu instid0(VALU_DEP_3) | instskip(NEXT) | instid1(VALU_DEP_3)
	v_mul_u32_u24_e32 v2, 25, v2
	v_sub_nc_u16 v0, v24, v0
	s_delay_alu instid0(VALU_DEP_3) | instskip(NEXT) | instid1(VALU_DEP_2)
	v_mul_u32_u24_e32 v1, 25, v1
	v_and_b32_e32 v0, 0xff, v0
	s_delay_alu instid0(VALU_DEP_1) | instskip(SKIP_2) | instid1(VALU_DEP_2)
	v_add_lshl_u32 v152, v1, v0, 2
	v_and_b32_e32 v1, 0xff, v3
	v_lshlrev_b32_e32 v0, 4, v0
	v_lshlrev_b32_e32 v3, 4, v1
	s_clause 0x1
	global_load_b128 v[159:162], v0, s[6:7]
	global_load_b128 v[12:15], v3, s[6:7]
	ds_load_2addr_b32 v[31:32], v142 offset0:86 offset1:211
	ds_load_2addr_b32 v[33:34], v139 offset0:68 offset1:193
	;; [unrolled: 1-line block ×4, first 2 shown]
	v_add_lshl_u32 v154, v2, v1, 2
	s_wait_dscnt 0x3
	v_lshrrev_b32_e32 v8, 16, v32
	s_wait_dscnt 0x2
	v_lshrrev_b32_e32 v9, 16, v33
	;; [unrolled: 2-line block ×4, first 2 shown]
	s_wait_loadcnt 0x1
	v_lshrrev_b32_e32 v88, 16, v161
	v_lshrrev_b32_e32 v93, 16, v162
	;; [unrolled: 1-line block ×4, first 2 shown]
	s_wait_loadcnt 0x0
	v_lshrrev_b32_e32 v176, 16, v13
	v_mul_f16_e32 v50, v32, v88
	v_mul_f16_e32 v51, v33, v93
	;; [unrolled: 1-line block ×4, first 2 shown]
	v_lshrrev_b32_e32 v174, 16, v15
	v_fmac_f16_e64 v50, v8, v161
	v_mul_f16_e32 v8, v8, v88
	v_fmac_f16_e64 v51, v9, v162
	v_mul_f16_e32 v9, v9, v93
	;; [unrolled: 2-line block ×3, first 2 shown]
	v_fma_f16 v53, v32, v161, -v8
	v_fmac_f16_e64 v49, v7, v160
	v_fma_f16 v54, v33, v162, -v9
	ds_load_2addr_b32 v[32:33], v87 offset1:125
	v_mul_f16_e32 v7, v7, v91
	v_fma_f16 v0, v5, v159, -v0
	v_sub_f16_e32 v61, v3, v51
	v_sub_f16_e32 v62, v49, v50
	ds_load_b32 v73, v87 offset:12000
	ds_load_2addr_b32 v[35:36], v129 offset0:110 offset1:235
	ds_load_2addr_b32 v[37:38], v122 offset0:80 offset1:205
	;; [unrolled: 1-line block ×7, first 2 shown]
	v_fma_f16 v52, v29, v160, -v7
	v_sub_f16_e32 v7, v54, v53
	v_sub_f16_e32 v63, v0, v54
	v_lshrrev_b32_e32 v181, 16, v12
	v_lshrrev_b32_e32 v180, 16, v14
	v_sub_f16_e32 v5, v0, v52
	v_sub_f16_e32 v66, v52, v53
	s_delay_alu instid0(VALU_DEP_2)
	v_add_f16_e32 v55, v5, v7
	v_sub_f16_e32 v5, v3, v49
	v_sub_f16_e32 v7, v51, v50
	s_wait_dscnt 0x6
	v_mul_f16_e64 v1, v35, v181
	v_lshrrev_b32_e32 v57, 16, v32
	s_wait_dscnt 0x5
	v_lshrrev_b32_e32 v2, 16, v37
	v_add_f16_e32 v56, v5, v7
	v_add_f16_e32 v5, v32, v0
	;; [unrolled: 1-line block ×3, first 2 shown]
	s_delay_alu instid0(VALU_DEP_2) | instskip(NEXT) | instid1(VALU_DEP_2)
	v_add_f16_e32 v5, v5, v52
	v_add_f16_e32 v7, v7, v49
	s_delay_alu instid0(VALU_DEP_2) | instskip(NEXT) | instid1(VALU_DEP_2)
	v_add_f16_e32 v5, v5, v53
	v_add_f16_e32 v7, v7, v50
	;; [unrolled: 3-line block ×3, first 2 shown]
	s_delay_alu instid0(VALU_DEP_1) | instskip(SKIP_1) | instid1(VALU_DEP_1)
	v_pack_b32_f16 v58, v5, v7
	v_add_f16_e32 v5, v52, v53
	v_fma_f16 v59, -0.5, v5, v32
	v_add_f16_e32 v5, v49, v50
	v_sub_f16_e32 v49, v49, v3
	v_add_f16_e32 v3, v3, v51
	v_sub_f16_e32 v50, v50, v51
	v_sub_f16_e32 v51, v52, v0
	v_fma_f16 v60, -0.5, v5, v57
	v_fmamk_f16 v5, v61, 0x3b9c, v59
	v_add_f16_e32 v0, v0, v54
	v_fmac_f16_e32 v57, -0.5, v3
	v_sub_f16_e32 v52, v53, v54
	v_fmamk_f16 v7, v63, 0xbb9c, v60
	v_fmac_f16_e32 v5, 0x38b4, v62
	v_fma_f16 v0, -0.5, v0, v32
	v_add_f16_e32 v3, v49, v50
	v_fmamk_f16 v49, v66, 0x3b9c, v57
	v_fmac_f16_e32 v7, 0xb8b4, v66
	v_fmac_f16_e32 v5, 0x34f2, v55
	v_fmamk_f16 v32, v62, 0xbb9c, v0
	v_fmac_f16_e32 v0, 0x3b9c, v62
	v_fmac_f16_e32 v57, 0xbb9c, v66
	;; [unrolled: 1-line block ×3, first 2 shown]
	v_add_f16_e32 v51, v51, v52
	v_fmac_f16_e32 v32, 0x38b4, v61
	v_fmac_f16_e32 v0, 0xb8b4, v61
	;; [unrolled: 1-line block ×3, first 2 shown]
	v_pack_b32_f16 v67, v5, v7
	v_mul_u32_u24_e32 v5, 0xcccd, v25
	v_and_b32_e32 v7, 0xffff, v64
	v_fmac_f16_e32 v57, 0x38b4, v63
	v_fmac_f16_e32 v32, 0x34f2, v51
	;; [unrolled: 1-line block ×3, first 2 shown]
	v_lshrrev_b32_e32 v68, 18, v5
	v_mul_u32_u24_e32 v5, 0xcccd, v7
	v_fmac_f16_e32 v49, 0x34f2, v3
	v_fmac_f16_e32 v57, 0x34f2, v3
	v_lshrrev_b32_e32 v52, 16, v33
	v_fmac_f16_e32 v59, 0xbb9c, v61
	v_lshrrev_b32_e32 v69, 18, v5
	v_and_b32_e32 v5, 0xffff, v72
	v_pack_b32_f16 v3, v32, v49
	v_pack_b32_f16 v0, v0, v57
	v_lshrrev_b32_e32 v32, 16, v34
	v_fmac_f16_e32 v60, 0x3b9c, v63
	v_mul_u32_u24_e32 v8, 0xcccd, v5
	v_fmac_f16_e32 v59, 0xb8b4, v62
	s_delay_alu instid0(VALU_DEP_4) | instskip(NEXT) | instid1(VALU_DEP_4)
	v_mul_f16_e64 v49, v32, v174
	v_fmac_f16_e32 v60, 0x38b4, v66
	s_delay_alu instid0(VALU_DEP_4)
	v_lshrrev_b32_e32 v28, 18, v8
	v_mul_lo_u16 v8, v68, 5
	v_fmac_f16_e32 v59, 0x34f2, v55
	v_fma_f16 v49, v34, v15, -v49
	v_mul_f16_e64 v34, v34, v174
	v_fmac_f16_e32 v60, 0x34f2, v56
	v_sub_nc_u16 v70, v65, v8
	v_mul_lo_u16 v8, v69, 5
	s_delay_alu instid0(VALU_DEP_4) | instskip(SKIP_1) | instid1(VALU_DEP_3)
	v_fmac_f16_e32 v34, v32, v15
	v_mul_f16_e64 v32, v37, v180
	v_sub_nc_u16 v71, v64, v8
	v_mul_lo_u16 v8, v28, 5
	s_delay_alu instid0(VALU_DEP_3) | instskip(SKIP_1) | instid1(VALU_DEP_4)
	v_fmac_f16_e32 v32, v2, v14
	v_mul_f16_e64 v2, v2, v180
	v_lshlrev_b16 v9, 2, v71
	s_delay_alu instid0(VALU_DEP_4)
	v_sub_nc_u16 v29, v72, v8
	v_lshlrev_b16 v8, 2, v70
	v_sub_f16_e32 v50, v34, v32
	v_fma_f16 v2, v37, v14, -v2
	v_and_b32_e32 v9, 0xffff, v9
	v_lshlrev_b16 v10, 2, v29
	v_and_b32_e32 v8, 0xffff, v8
	v_mad_u16 v28, v28, 25, v29
	v_sub_f16_e32 v37, v49, v2
	v_lshlrev_b32_e32 v9, 2, v9
	v_and_b32_e32 v10, 0xffff, v10
	v_lshlrev_b32_e32 v8, 2, v8
	v_and_b32_e32 v28, 0xffff, v28
	s_delay_alu instid0(VALU_DEP_3)
	v_lshlrev_b32_e32 v10, 2, v10
	s_clause 0x2
	global_load_b128 v[20:23], v8, s[6:7]
	global_load_b128 v[16:19], v9, s[6:7]
	global_load_b128 v[8:11], v10, s[6:7]
	global_wb scope:SCOPE_SE
	s_wait_loadcnt_dscnt 0x0
	s_barrier_signal -1
	s_barrier_wait -1
	global_inv scope:SCOPE_SE
	ds_store_2addr_b32 v152, v3, v0 offset0:10 offset1:15
	v_lshrrev_b32_e32 v0, 16, v30
	ds_store_2addr_b32 v152, v58, v67 offset1:5
	v_lshlrev_b32_e32 v157, 2, v28
	v_mul_f16_e64 v3, v0, v176
	s_delay_alu instid0(VALU_DEP_1) | instskip(SKIP_1) | instid1(VALU_DEP_1)
	v_fma_f16 v3, v30, v13, -v3
	v_mul_f16_e64 v30, v30, v176
	v_fmac_f16_e32 v30, v0, v13
	v_lshrrev_b32_e32 v0, 16, v35
	s_delay_alu instid0(VALU_DEP_2) | instskip(NEXT) | instid1(VALU_DEP_2)
	v_sub_f16_e32 v56, v30, v32
	v_fmac_f16_e32 v1, v0, v12
	v_mul_f16_e64 v0, v0, v181
	v_add_f16_e32 v57, v30, v32
	s_delay_alu instid0(VALU_DEP_3) | instskip(NEXT) | instid1(VALU_DEP_3)
	v_add_f16_e32 v53, v52, v1
	v_fma_f16 v0, v35, v12, -v0
	v_sub_f16_e32 v54, v1, v34
	s_delay_alu instid0(VALU_DEP_4) | instskip(NEXT) | instid1(VALU_DEP_4)
	v_fma_f16 v57, -0.5, v57, v52
	v_add_f16_e32 v53, v53, v30
	s_delay_alu instid0(VALU_DEP_4) | instskip(SKIP_2) | instid1(VALU_DEP_4)
	v_add_f16_e32 v51, v33, v0
	v_sub_f16_e32 v35, v0, v3
	v_sub_f16_e32 v58, v0, v49
	v_add_f16_e32 v53, v53, v32
	s_delay_alu instid0(VALU_DEP_4) | instskip(NEXT) | instid1(VALU_DEP_4)
	v_add_f16_e32 v51, v51, v3
	v_add_f16_e32 v35, v35, v37
	v_sub_f16_e32 v37, v1, v30
	v_sub_f16_e32 v30, v30, v1
	v_add_f16_e32 v53, v53, v34
	v_add_f16_e32 v51, v51, v2
	;; [unrolled: 1-line block ×4, first 2 shown]
	v_pack_b32_f16 v50, v59, v60
	v_sub_f16_e32 v60, v3, v2
	v_add_f16_e32 v51, v51, v49
	v_fmac_f16_e32 v52, -0.5, v1
	v_sub_f16_e32 v32, v32, v34
	v_fmamk_f16 v59, v58, 0xbb9c, v57
	v_fmac_f16_e32 v57, 0x3b9c, v58
	v_pack_b32_f16 v51, v51, v53
	v_add_f16_e32 v53, v3, v2
	v_sub_f16_e32 v3, v3, v0
	v_add_f16_e32 v0, v0, v49
	v_sub_f16_e32 v2, v2, v49
	v_add_f16_e32 v1, v30, v32
	v_fma_f16 v53, -0.5, v53, v33
	v_fmac_f16_e32 v59, 0xb8b4, v60
	v_fmac_f16_e32 v33, -0.5, v0
	v_add_f16_e32 v0, v3, v2
	v_fmamk_f16 v3, v60, 0x3b9c, v52
	v_fmac_f16_e32 v52, 0xbb9c, v60
	v_fmamk_f16 v55, v54, 0x3b9c, v53
	v_fmamk_f16 v2, v56, 0xbb9c, v33
	v_fmac_f16_e32 v33, 0x3b9c, v56
	v_fmac_f16_e32 v3, 0xb8b4, v58
	;; [unrolled: 1-line block ×14, first 2 shown]
	v_pack_b32_f16 v0, v2, v3
	v_pack_b32_f16 v30, v33, v52
	;; [unrolled: 1-line block ×3, first 2 shown]
	ds_store_b32 v152, v50 offset:80
	ds_store_2addr_b32 v154, v51, v55 offset1:5
	ds_store_2addr_b32 v154, v0, v30 offset0:10 offset1:15
	v_lshrrev_b32_e32 v0, 16, v36
	v_lshrrev_b32_e32 v3, 16, v38
	;; [unrolled: 1-line block ×3, first 2 shown]
	v_fmac_f16_e32 v57, 0x34f2, v37
	v_fmac_f16_e32 v53, 0xb8b4, v56
	s_delay_alu instid0(VALU_DEP_1)
	v_fmac_f16_e32 v53, 0x34f2, v35
	v_lshrrev_b32_e32 v186, 16, v20
	v_lshrrev_b32_e32 v184, 16, v22
	;; [unrolled: 1-line block ×5, first 2 shown]
	v_mul_f16_e64 v2, v36, v186
	v_mul_f16_e64 v32, v38, v184
	;; [unrolled: 1-line block ×5, first 2 shown]
	v_fmac_f16_e32 v2, v0, v20
	v_fmac_f16_e32 v32, v3, v22
	v_lshrrev_b32_e32 v0, 16, v41
	v_mul_f16_e64 v3, v41, v187
	v_fmac_f16_e32 v34, v33, v23
	v_fma_f16 v1, v36, v20, -v1
	v_fma_f16 v30, v38, v22, -v30
	v_mul_f16_e64 v33, v33, v185
	v_fmac_f16_e32 v3, v0, v21
	v_mul_f16_e64 v0, v0, v187
	v_sub_f16_e32 v38, v34, v32
	v_sub_f16_e32 v49, v2, v34
	v_fma_f16 v33, v43, v23, -v33
	v_sub_f16_e32 v37, v2, v3
	v_fma_f16 v0, v41, v21, -v0
	v_lshrrev_b32_e32 v41, 16, v39
	v_sub_f16_e32 v51, v3, v32
	v_sub_f16_e32 v36, v33, v30
	v_add_f16_e32 v37, v37, v38
	v_add_f16_e32 v38, v39, v1
	;; [unrolled: 1-line block ×3, first 2 shown]
	v_sub_f16_e32 v35, v1, v0
	v_sub_f16_e32 v55, v0, v30
	v_add_f16_e32 v52, v3, v32
	v_add_f16_e32 v38, v38, v0
	;; [unrolled: 1-line block ×4, first 2 shown]
	v_pack_b32_f16 v36, v53, v57
	v_sub_f16_e32 v53, v1, v33
	v_add_f16_e32 v38, v38, v30
	v_add_f16_e32 v43, v43, v32
	v_fma_f16 v52, -0.5, v52, v41
	ds_store_b32 v154, v36 offset:80
	v_mad_u16 v36, v68, 25, v70
	v_add_f16_e32 v38, v38, v33
	v_add_f16_e32 v43, v43, v34
	v_fmamk_f16 v54, v53, 0xbb9c, v52
	v_lshrrev_b32_e32 v190, 16, v19
	v_and_b32_e32 v36, 0xffff, v36
	v_lshrrev_b32_e32 v194, 16, v16
	v_pack_b32_f16 v38, v38, v43
	v_add_f16_e32 v43, v0, v30
	v_sub_f16_e32 v0, v0, v1
	v_sub_f16_e32 v30, v30, v33
	v_add_f16_e32 v1, v1, v33
	v_lshlrev_b32_e32 v155, 2, v36
	v_fma_f16 v43, -0.5, v43, v39
	v_fmac_f16_e32 v54, 0xb8b4, v55
	v_add_f16_e32 v0, v0, v30
	v_add_f16_e32 v30, v2, v34
	v_fma_f16 v1, -0.5, v1, v39
	v_sub_f16_e32 v2, v3, v2
	v_sub_f16_e32 v3, v32, v34
	v_fmamk_f16 v50, v49, 0x3b9c, v43
	v_fmac_f16_e32 v41, -0.5, v30
	v_fmamk_f16 v30, v51, 0xbb9c, v1
	v_fmac_f16_e32 v1, 0x3b9c, v51
	v_mul_f16_e64 v32, v44, v190
	v_fmac_f16_e32 v50, 0x38b4, v51
	v_lshrrev_b32_e32 v193, 16, v18
	v_fmac_f16_e32 v30, 0x38b4, v49
	v_fmac_f16_e32 v1, 0xb8b4, v49
	;; [unrolled: 1-line block ×7, first 2 shown]
	v_add_f16_e32 v0, v2, v3
	v_fmamk_f16 v2, v55, 0x3b9c, v41
	v_fmac_f16_e32 v41, 0xbb9c, v55
	v_lshrrev_b32_e32 v3, 16, v44
	v_lshrrev_b32_e32 v33, 16, v47
	v_mul_f16_e64 v34, v47, v193
	v_fmac_f16_e32 v2, 0xb8b4, v53
	v_fmac_f16_e32 v41, 0x38b4, v53
	;; [unrolled: 1-line block ×3, first 2 shown]
	v_pack_b32_f16 v50, v50, v54
	v_fmac_f16_e32 v52, 0x38b4, v55
	v_fmac_f16_e32 v2, 0x34f2, v0
	;; [unrolled: 1-line block ×4, first 2 shown]
	ds_store_2addr_b32 v155, v38, v50 offset1:5
	v_fmac_f16_e32 v52, 0x34f2, v37
	v_pack_b32_f16 v0, v30, v2
	v_pack_b32_f16 v1, v1, v41
	v_mul_f16_e64 v2, v42, v192
	v_mul_f16_e64 v30, v3, v190
	;; [unrolled: 1-line block ×3, first 2 shown]
	v_sub_f16_e32 v38, v32, v34
	ds_store_2addr_b32 v155, v0, v1 offset0:10 offset1:15
	v_lshrrev_b32_e32 v0, 16, v42
	v_lshrrev_b32_e32 v39, 16, v40
	v_mul_f16_e64 v33, v33, v193
	v_fmac_f16_e32 v43, 0xbb9c, v49
	v_fma_f16 v30, v44, v19, -v30
	v_mul_f16_e64 v1, v0, v192
	v_fmac_f16_e32 v2, v0, v17
	v_lshrrev_b32_e32 v0, 16, v45
	v_fma_f16 v33, v47, v18, -v33
	v_fmac_f16_e32 v43, 0xb8b4, v51
	v_fma_f16 v1, v42, v17, -v1
	v_sub_f16_e32 v44, v2, v34
	v_fmac_f16_e32 v3, v0, v16
	v_mul_f16_e64 v0, v0, v194
	v_fmac_f16_e32 v43, 0x34f2, v35
	v_sub_f16_e32 v50, v1, v33
	v_sub_f16_e32 v36, v30, v33
	;; [unrolled: 1-line block ×3, first 2 shown]
	v_fma_f16 v0, v45, v16, -v0
	v_add_f16_e32 v41, v39, v3
	v_sub_f16_e32 v42, v3, v32
	v_add_f16_e32 v45, v2, v34
	v_add_f16_e32 v37, v37, v38
	;; [unrolled: 1-line block ×4, first 2 shown]
	v_sub_f16_e32 v35, v0, v1
	v_sub_f16_e32 v47, v0, v30
	;; [unrolled: 1-line block ×3, first 2 shown]
	v_add_f16_e32 v38, v38, v1
	v_add_f16_e32 v41, v41, v34
	;; [unrolled: 1-line block ×3, first 2 shown]
	v_fma_f16 v45, -0.5, v45, v39
	v_add_f16_e32 v35, v35, v36
	v_add_f16_e32 v38, v38, v33
	;; [unrolled: 1-line block ×3, first 2 shown]
	v_sub_f16_e32 v32, v34, v32
	v_fmac_f16_e32 v39, -0.5, v3
	v_pack_b32_f16 v36, v43, v52
	v_add_f16_e32 v38, v38, v30
	v_lshrrev_b32_e32 v201, 16, v8
	v_lshrrev_b32_e32 v198, 16, v9
	v_fmamk_f16 v3, v50, 0x3b9c, v39
	v_fmac_f16_e32 v39, 0xbb9c, v50
	v_pack_b32_f16 v38, v38, v41
	v_add_f16_e32 v41, v1, v33
	v_sub_f16_e32 v1, v1, v0
	v_add_f16_e32 v0, v0, v30
	v_sub_f16_e32 v30, v33, v30
	ds_store_b32 v155, v36 offset:80
	v_fma_f16 v41, -0.5, v41, v40
	v_mad_u16 v36, v69, 25, v71
	v_fmac_f16_e32 v40, -0.5, v0
	v_add_f16_e32 v0, v1, v30
	v_add_f16_e32 v1, v2, v32
	v_fmac_f16_e32 v39, 0x38b4, v47
	v_fmac_f16_e32 v3, 0xb8b4, v47
	v_fmamk_f16 v2, v44, 0xbb9c, v40
	v_fmac_f16_e32 v40, 0x3b9c, v44
	v_and_b32_e32 v36, 0xffff, v36
	v_fmac_f16_e32 v39, 0x34f2, v1
	v_fmac_f16_e32 v3, 0x34f2, v1
	;; [unrolled: 1-line block ×4, first 2 shown]
	v_lshlrev_b32_e32 v156, 2, v36
	v_fmamk_f16 v43, v42, 0x3b9c, v41
	v_fmamk_f16 v49, v47, 0xbb9c, v45
	v_fmac_f16_e32 v2, 0x34f2, v0
	v_fmac_f16_e32 v40, 0x34f2, v0
	v_lshrrev_b32_e32 v32, 16, v48
	v_fmac_f16_e32 v43, 0x38b4, v44
	v_fmac_f16_e32 v49, 0xb8b4, v50
	v_pack_b32_f16 v0, v2, v3
	v_pack_b32_f16 v30, v40, v39
	v_lshrrev_b32_e32 v3, 16, v31
	v_mul_f16_e64 v2, v46, v201
	v_lshrrev_b32_e32 v200, 16, v10
	v_lshrrev_b32_e32 v199, 16, v11
	ds_store_2addr_b32 v156, v0, v30 offset0:10 offset1:15
	v_lshrrev_b32_e32 v0, 16, v46
	v_mul_f16_e64 v30, v3, v198
	v_fmac_f16_e32 v43, 0x34f2, v35
	v_fmac_f16_e32 v49, 0x34f2, v37
	v_mul_f16_e64 v33, v32, v200
	v_mul_f16_e64 v1, v0, v201
	v_fma_f16 v30, v31, v9, -v30
	v_mul_f16_e64 v31, v31, v198
	v_fmac_f16_e32 v2, v0, v8
	v_lshrrev_b32_e32 v0, 16, v73
	v_fma_f16 v1, v46, v8, -v1
	v_mul_f16_e64 v34, v48, v200
	v_fmac_f16_e32 v31, v3, v9
	v_fmac_f16_e32 v41, 0xbb9c, v42
	v_mul_f16_e64 v3, v0, v199
	v_pack_b32_f16 v43, v43, v49
	v_fma_f16 v33, v48, v10, -v33
	v_fmac_f16_e32 v34, v32, v10
	v_mul_f16_e64 v32, v73, v199
	v_fma_f16 v3, v73, v11, -v3
	v_add_f16_e32 v39, v4, v1
	v_fmac_f16_e32 v41, 0xb8b4, v44
	ds_store_2addr_b32 v156, v38, v43 offset1:5
	v_fmac_f16_e32 v32, v0, v11
	v_add_f16_e32 v0, v30, v33
	v_add_f16_e32 v36, v1, v3
	v_lshrrev_b32_e32 v38, 16, v4
	v_fmac_f16_e32 v41, 0x34f2, v35
	v_add_f16_e32 v35, v39, v30
	v_fma_f16 v0, -0.5, v0, v4
	v_fmac_f16_e32 v4, -0.5, v36
	v_sub_f16_e32 v36, v30, v1
	v_add_f16_e32 v46, v38, v2
	v_sub_f16_e32 v52, v30, v33
	v_sub_f16_e32 v54, v1, v3
	v_sub_f16_e32 v1, v1, v30
	v_add_f16_e32 v30, v35, v33
	v_sub_f16_e32 v40, v33, v3
	v_sub_f16_e32 v33, v3, v33
	v_add_f16_e32 v43, v2, v32
	v_sub_f16_e32 v48, v34, v32
	v_add_f16_e32 v3, v30, v3
	v_add_f16_e32 v30, v46, v31
	;; [unrolled: 1-line block ×4, first 2 shown]
	v_sub_f16_e32 v51, v2, v32
	v_fmac_f16_e32 v45, 0x3b9c, v47
	v_add_f16_e32 v30, v30, v34
	v_add_f16_e32 v1, v1, v33
	v_fma_f16 v40, -0.5, v40, v38
	v_fmac_f16_e32 v38, -0.5, v43
	v_sub_f16_e32 v43, v31, v2
	v_add_f16_e32 v30, v30, v32
	v_sub_f16_e32 v2, v2, v31
	v_fmamk_f16 v29, v51, 0x3b9c, v0
	v_fmamk_f16 v53, v52, 0x3b9c, v38
	v_add_f16_e32 v43, v43, v48
	v_sub_f16_e32 v48, v31, v34
	v_sub_f16_e32 v31, v32, v34
	v_pack_b32_f16 v3, v3, v30
	v_fmamk_f16 v30, v54, 0xbb9c, v40
	v_fmac_f16_e32 v38, 0xbb9c, v52
	v_fmamk_f16 v49, v48, 0xbb9c, v4
	v_fmac_f16_e32 v4, 0x3b9c, v48
	v_fmac_f16_e32 v45, 0x38b4, v50
	v_add_f16_e32 v2, v2, v31
	v_fmac_f16_e32 v29, 0x38b4, v48
	v_fmac_f16_e32 v30, 0xb8b4, v52
	;; [unrolled: 1-line block ×15, first 2 shown]
	v_pack_b32_f16 v31, v41, v45
	v_pack_b32_f16 v29, v29, v30
	v_fmac_f16_e32 v49, 0x34f2, v36
	v_fmac_f16_e32 v53, 0x34f2, v43
	;; [unrolled: 1-line block ×4, first 2 shown]
	v_pack_b32_f16 v4, v4, v38
	ds_store_b32 v156, v31 offset:80
	ds_store_2addr_b32 v157, v3, v29 offset1:5
	v_pack_b32_f16 v3, v49, v53
	v_pack_b32_f16 v0, v0, v40
	v_mul_lo_u16 v1, v26, 41
	ds_store_2addr_b32 v157, v3, v4 offset0:10 offset1:15
	ds_store_b32 v157, v0 offset:80
	v_lshrrev_b16 v4, 10, v1
	v_mul_u32_u24_e32 v0, 0x47af, v25
	global_wb scope:SCOPE_SE
	s_wait_dscnt 0x0
	s_barrier_signal -1
	s_barrier_wait -1
	v_mul_lo_u16 v1, v4, 25
	v_lshrrev_b32_e32 v0, 16, v0
	global_inv scope:SCOPE_SE
	v_and_b32_e32 v4, 0xffff, v4
	v_sub_nc_u16 v24, v24, v1
	v_sub_nc_u16 v1, v65, v0
	s_delay_alu instid0(VALU_DEP_3) | instskip(NEXT) | instid1(VALU_DEP_2)
	v_mul_u32_u24_e32 v4, 0x7d, v4
	v_lshrrev_b16 v1, 1, v1
	s_delay_alu instid0(VALU_DEP_1) | instskip(SKIP_1) | instid1(VALU_DEP_2)
	v_add_nc_u16 v26, v1, v0
	v_mul_u32_u24_e32 v0, 0x47af, v7
	v_lshrrev_b16 v84, 4, v26
	s_delay_alu instid0(VALU_DEP_2) | instskip(NEXT) | instid1(VALU_DEP_2)
	v_lshrrev_b32_e32 v0, 16, v0
	v_mul_lo_u16 v26, v84, 25
	s_delay_alu instid0(VALU_DEP_2) | instskip(NEXT) | instid1(VALU_DEP_2)
	v_sub_nc_u16 v1, v64, v0
	v_sub_nc_u16 v85, v65, v26
	s_delay_alu instid0(VALU_DEP_2) | instskip(NEXT) | instid1(VALU_DEP_2)
	v_lshrrev_b16 v1, 1, v1
	v_lshlrev_b16 v26, 4, v85
	s_delay_alu instid0(VALU_DEP_2) | instskip(SKIP_1) | instid1(VALU_DEP_3)
	v_add_nc_u16 v32, v1, v0
	v_mul_u32_u24_e32 v0, 0x47af, v5
	v_and_b32_e32 v26, 0xffff, v26
	s_delay_alu instid0(VALU_DEP_3) | instskip(NEXT) | instid1(VALU_DEP_3)
	v_lshrrev_b16 v86, 4, v32
	v_lshrrev_b32_e32 v0, 16, v0
	s_delay_alu instid0(VALU_DEP_3) | instskip(NEXT) | instid1(VALU_DEP_2)
	v_add_co_u32 v26, s2, s6, v26
	v_sub_nc_u16 v1, v72, v0
	s_delay_alu instid0(VALU_DEP_4) | instskip(NEXT) | instid1(VALU_DEP_2)
	v_mul_lo_u16 v32, v86, 25
	v_lshrrev_b16 v1, 1, v1
	s_delay_alu instid0(VALU_DEP_2) | instskip(NEXT) | instid1(VALU_DEP_2)
	v_sub_nc_u16 v165, v64, v32
	v_add_nc_u16 v33, v1, v0
	v_mul_lo_u16 v0, v27, 41
	v_and_b32_e32 v1, 0xff, v24
	s_delay_alu instid0(VALU_DEP_3) | instskip(NEXT) | instid1(VALU_DEP_3)
	v_lshrrev_b16 v164, 4, v33
	v_lshrrev_b16 v0, 10, v0
	s_delay_alu instid0(VALU_DEP_3) | instskip(SKIP_1) | instid1(VALU_DEP_4)
	v_lshlrev_b32_e32 v3, 4, v1
	v_add_lshl_u32 v158, v4, v1, 2
	v_mul_lo_u16 v32, v164, 25
	s_delay_alu instid0(VALU_DEP_4) | instskip(SKIP_1) | instid1(VALU_DEP_3)
	v_mul_lo_u16 v2, v0, 25
	v_and_b32_e32 v0, 0xffff, v0
	v_sub_nc_u16 v166, v72, v32
	s_delay_alu instid0(VALU_DEP_3) | instskip(SKIP_1) | instid1(VALU_DEP_4)
	v_sub_nc_u16 v2, v6, v2
	v_lshlrev_b16 v32, 4, v165
	v_mul_u32_u24_e32 v0, 0x7d, v0
	s_delay_alu instid0(VALU_DEP_4) | instskip(NEXT) | instid1(VALU_DEP_4)
	v_lshlrev_b16 v33, 4, v166
	v_and_b32_e32 v2, 0xff, v2
	s_delay_alu instid0(VALU_DEP_4) | instskip(NEXT) | instid1(VALU_DEP_2)
	v_and_b32_e32 v32, 0xffff, v32
	v_lshlrev_b32_e32 v24, 4, v2
	s_clause 0x1
	global_load_b128 v[28:31], v3, s[6:7] offset:80
	global_load_b128 v[36:39], v24, s[6:7] offset:80
	ds_load_2addr_b32 v[48:49], v143 offset0:116 offset1:241
	ds_load_2addr_b32 v[50:51], v141 offset0:98 offset1:223
	;; [unrolled: 1-line block ×4, first 2 shown]
	ds_load_b32 v168, v87 offset:12000
	v_add_lshl_u32 v163, v0, v2, 2
	s_wait_dscnt 0x4
	v_lshrrev_b32_e32 v3, 16, v49
	s_wait_dscnt 0x3
	v_lshrrev_b32_e32 v27, 16, v50
	;; [unrolled: 2-line block ×4, first 2 shown]
	s_wait_loadcnt 0x1
	v_lshrrev_b32_e32 v191, 16, v28
	v_lshrrev_b32_e32 v195, 16, v29
	;; [unrolled: 1-line block ×4, first 2 shown]
	s_wait_loadcnt 0x0
	v_lshrrev_b32_e32 v203, 16, v37
	v_mul_f16_e64 v24, v49, v191
	v_mul_f16_e64 v68, v50, v195
	;; [unrolled: 1-line block ×4, first 2 shown]
	v_lshrrev_b32_e32 v202, 16, v39
	v_fmac_f16_e32 v24, v3, v28
	v_mul_f16_e64 v3, v3, v191
	v_fmac_f16_e32 v68, v27, v29
	v_mul_f16_e64 v27, v27, v195
	;; [unrolled: 2-line block ×3, first 2 shown]
	v_fma_f16 v3, v49, v28, -v3
	v_fmac_f16_e32 v70, v35, v31
	v_fma_f16 v71, v50, v29, -v27
	ds_load_2addr_b32 v[49:50], v87 offset1:125
	v_mul_f16_e64 v35, v35, v197
	v_fma_f16 v73, v53, v30, -v34
	v_sub_f16_e32 v78, v24, v70
	v_sub_f16_e32 v27, v3, v71
	;; [unrolled: 1-line block ×3, first 2 shown]
	v_fma_f16 v74, v54, v31, -v35
	v_sub_f16_e32 v82, v71, v73
	v_lshrrev_b32_e32 v206, 16, v36
	v_lshrrev_b32_e32 v205, 16, v38
	s_delay_alu instid0(VALU_DEP_4) | instskip(SKIP_1) | instid1(VALU_DEP_2)
	v_sub_f16_e32 v34, v74, v73
	v_sub_f16_e32 v81, v3, v74
	v_add_f16_e32 v75, v27, v34
	v_sub_f16_e32 v27, v24, v68
	v_sub_f16_e32 v34, v70, v69
	s_wait_dscnt 0x0
	v_lshrrev_b32_e32 v4, 16, v49
	v_add_f16_e32 v1, v49, v3
	v_lshrrev_b32_e32 v2, 16, v50
	v_add_f16_e32 v76, v27, v34
	v_add_f16_e32 v34, v68, v69
	;; [unrolled: 1-line block ×4, first 2 shown]
	s_delay_alu instid0(VALU_DEP_3) | instskip(NEXT) | instid1(VALU_DEP_3)
	v_fma_f16 v80, -0.5, v34, v4
	v_add_f16_e32 v27, v27, v68
	s_delay_alu instid0(VALU_DEP_3) | instskip(NEXT) | instid1(VALU_DEP_3)
	v_add_f16_e32 v1, v1, v73
	v_fmamk_f16 v34, v81, 0xbb9c, v80
	s_delay_alu instid0(VALU_DEP_3) | instskip(NEXT) | instid1(VALU_DEP_3)
	v_add_f16_e32 v27, v27, v69
	v_add_f16_e32 v1, v1, v74
	v_fmac_f16_e32 v80, 0x3b9c, v81
	s_delay_alu instid0(VALU_DEP_4) | instskip(NEXT) | instid1(VALU_DEP_4)
	v_fmac_f16_e32 v34, 0xb8b4, v82
	v_add_f16_e32 v27, v27, v70
	s_delay_alu instid0(VALU_DEP_3) | instskip(NEXT) | instid1(VALU_DEP_3)
	v_fmac_f16_e32 v80, 0x38b4, v82
	v_fmac_f16_e32 v34, 0x34f2, v76
	s_delay_alu instid0(VALU_DEP_3) | instskip(SKIP_1) | instid1(VALU_DEP_4)
	v_pack_b32_f16 v1, v1, v27
	v_add_f16_e32 v27, v71, v73
	v_fmac_f16_e32 v80, 0x34f2, v76
	s_delay_alu instid0(VALU_DEP_2) | instskip(NEXT) | instid1(VALU_DEP_1)
	v_fma_f16 v77, -0.5, v27, v49
	v_fmamk_f16 v27, v78, 0x3b9c, v77
	v_fmac_f16_e32 v77, 0xbb9c, v78
	s_delay_alu instid0(VALU_DEP_2) | instskip(NEXT) | instid1(VALU_DEP_2)
	v_fmac_f16_e32 v27, 0x38b4, v79
	v_fmac_f16_e32 v77, 0xb8b4, v79
	s_delay_alu instid0(VALU_DEP_2) | instskip(NEXT) | instid1(VALU_DEP_2)
	v_fmac_f16_e32 v27, 0x34f2, v75
	v_fmac_f16_e32 v77, 0x34f2, v75
	s_delay_alu instid0(VALU_DEP_2)
	v_pack_b32_f16 v83, v27, v34
	s_wait_alu 0xf1ff
	v_add_co_ci_u32_e64 v27, null, s7, 0, s2
	v_and_b32_e32 v34, 0xffff, v33
	v_add_co_u32 v32, s2, s6, v32
	global_load_b128 v[44:47], v[26:27], off offset:80
	s_wait_alu 0xf1ff
	v_add_co_ci_u32_e64 v33, null, s7, 0, s2
	v_add_co_u32 v34, s2, s6, v34
	s_wait_alu 0xf1ff
	v_add_co_ci_u32_e64 v35, null, s7, 0, s2
	ds_load_2addr_b32 v[26:27], v129 offset0:110 offset1:235
	ds_load_2addr_b32 v[53:54], v122 offset0:80 offset1:205
	;; [unrolled: 1-line block ×7, first 2 shown]
	s_clause 0x1
	global_load_b128 v[40:43], v[32:33], off offset:80
	global_load_b128 v[32:35], v[34:35], off offset:80
	global_wb scope:SCOPE_SE
	s_wait_loadcnt_dscnt 0x0
	s_barrier_signal -1
	s_barrier_wait -1
	global_inv scope:SCOPE_SE
	ds_store_2addr_b32 v158, v1, v83 offset1:25
	v_sub_f16_e32 v1, v71, v3
	v_add_f16_e32 v3, v3, v74
	v_sub_f16_e32 v71, v73, v74
	s_delay_alu instid0(VALU_DEP_2) | instskip(NEXT) | instid1(VALU_DEP_2)
	v_fma_f16 v3, -0.5, v3, v49
	v_add_f16_e32 v1, v1, v71
	v_add_f16_e32 v71, v24, v70
	v_sub_f16_e32 v24, v68, v24
	v_sub_f16_e32 v68, v69, v70
	v_fmamk_f16 v49, v79, 0xbb9c, v3
	v_fmac_f16_e32 v3, 0x3b9c, v79
	v_fmac_f16_e32 v4, -0.5, v71
	s_delay_alu instid0(VALU_DEP_3) | instskip(NEXT) | instid1(VALU_DEP_3)
	v_fmac_f16_e32 v49, 0x38b4, v78
	v_fmac_f16_e32 v3, 0xb8b4, v78
	s_delay_alu instid0(VALU_DEP_2) | instskip(NEXT) | instid1(VALU_DEP_2)
	v_fmac_f16_e32 v49, 0x34f2, v1
	v_fmac_f16_e32 v3, 0x34f2, v1
	v_add_f16_e32 v1, v24, v68
	v_fmamk_f16 v24, v82, 0x3b9c, v4
	v_fmac_f16_e32 v4, 0xbb9c, v82
	v_mul_f16_e64 v68, v53, v205
	s_delay_alu instid0(VALU_DEP_3) | instskip(NEXT) | instid1(VALU_DEP_3)
	v_fmac_f16_e32 v24, 0xb8b4, v81
	v_fmac_f16_e32 v4, 0x38b4, v81
	s_delay_alu instid0(VALU_DEP_2) | instskip(NEXT) | instid1(VALU_DEP_2)
	v_fmac_f16_e32 v24, 0x34f2, v1
	v_fmac_f16_e32 v4, 0x34f2, v1
	s_delay_alu instid0(VALU_DEP_2) | instskip(NEXT) | instid1(VALU_DEP_2)
	v_pack_b32_f16 v1, v49, v24
	v_pack_b32_f16 v3, v3, v4
	v_mul_f16_e64 v4, v51, v203
	v_lshrrev_b32_e32 v24, 16, v55
	ds_store_2addr_b32 v158, v1, v3 offset0:50 offset1:75
	v_lshrrev_b32_e32 v1, 16, v51
	v_mul_f16_e64 v49, v24, v202
	s_delay_alu instid0(VALU_DEP_2) | instskip(SKIP_2) | instid1(VALU_DEP_4)
	v_mul_f16_e64 v3, v1, v203
	v_fmac_f16_e32 v4, v1, v37
	v_lshrrev_b32_e32 v1, 16, v26
	v_fma_f16 v49, v55, v39, -v49
	s_delay_alu instid0(VALU_DEP_4) | instskip(SKIP_2) | instid1(VALU_DEP_2)
	v_fma_f16 v3, v51, v37, -v3
	v_mul_f16_e64 v51, v55, v202
	v_lshrrev_b32_e32 v55, 16, v53
	v_fmac_f16_e32 v51, v24, v39
	v_mul_f16_e64 v24, v26, v206
	s_delay_alu instid0(VALU_DEP_3) | instskip(SKIP_1) | instid1(VALU_DEP_3)
	v_fmac_f16_e32 v68, v55, v38
	v_mul_f16_e64 v55, v55, v205
	v_fmac_f16_e32 v24, v1, v36
	v_mul_f16_e64 v1, v1, v206
	s_delay_alu instid0(VALU_DEP_4)
	v_add_f16_e32 v75, v4, v68
	v_sub_f16_e32 v69, v51, v68
	v_sub_f16_e32 v74, v4, v68
	v_add_f16_e32 v70, v2, v24
	v_fma_f16 v1, v26, v36, -v1
	v_fma_f16 v26, v53, v38, -v55
	v_sub_f16_e32 v71, v24, v51
	v_fma_f16 v75, -0.5, v75, v2
	v_add_f16_e32 v70, v70, v4
	v_add_f16_e32 v0, v50, v1
	v_sub_f16_e32 v53, v1, v3
	v_sub_f16_e32 v55, v49, v26
	;; [unrolled: 1-line block ×3, first 2 shown]
	v_add_f16_e32 v70, v70, v68
	v_add_f16_e32 v0, v0, v3
	v_sub_f16_e32 v78, v3, v26
	v_add_f16_e32 v53, v53, v55
	v_sub_f16_e32 v55, v24, v4
	v_add_f16_e32 v70, v70, v51
	v_add_f16_e32 v0, v0, v26
	v_sub_f16_e32 v4, v4, v24
	v_add_f16_e32 v24, v24, v51
	v_add_f16_e32 v55, v55, v69
	v_pack_b32_f16 v69, v77, v80
	v_add_f16_e32 v0, v0, v49
	v_fmamk_f16 v77, v76, 0xbb9c, v75
	v_fmac_f16_e32 v2, -0.5, v24
	v_fmac_f16_e32 v75, 0x3b9c, v76
	s_delay_alu instid0(VALU_DEP_4) | instskip(SKIP_2) | instid1(VALU_DEP_4)
	v_pack_b32_f16 v0, v0, v70
	v_add_f16_e32 v70, v3, v26
	v_fmac_f16_e32 v77, 0xb8b4, v78
	v_fmac_f16_e32 v75, 0x38b4, v78
	s_delay_alu instid0(VALU_DEP_3) | instskip(NEXT) | instid1(VALU_DEP_3)
	v_fma_f16 v70, -0.5, v70, v50
	v_fmac_f16_e32 v77, 0x34f2, v55
	s_delay_alu instid0(VALU_DEP_3) | instskip(NEXT) | instid1(VALU_DEP_3)
	v_fmac_f16_e32 v75, 0x34f2, v55
	v_fmamk_f16 v73, v71, 0x3b9c, v70
	v_fmac_f16_e32 v70, 0xbb9c, v71
	s_delay_alu instid0(VALU_DEP_2) | instskip(NEXT) | instid1(VALU_DEP_2)
	v_fmac_f16_e32 v73, 0x38b4, v74
	v_fmac_f16_e32 v70, 0xb8b4, v74
	s_delay_alu instid0(VALU_DEP_2) | instskip(NEXT) | instid1(VALU_DEP_2)
	v_fmac_f16_e32 v73, 0x34f2, v53
	v_fmac_f16_e32 v70, 0x34f2, v53
	s_delay_alu instid0(VALU_DEP_2)
	v_pack_b32_f16 v73, v73, v77
	ds_store_b32 v158, v69 offset:400
	ds_store_2addr_b32 v163, v0, v73 offset1:25
	v_sub_f16_e32 v0, v3, v1
	v_add_f16_e32 v1, v1, v49
	v_sub_f16_e32 v3, v26, v49
	v_sub_f16_e32 v26, v68, v51
	s_delay_alu instid0(VALU_DEP_3) | instskip(NEXT) | instid1(VALU_DEP_3)
	v_fmac_f16_e32 v50, -0.5, v1
	v_add_f16_e32 v0, v0, v3
	s_delay_alu instid0(VALU_DEP_3)
	v_add_f16_e32 v1, v4, v26
	v_fmamk_f16 v4, v78, 0x3b9c, v2
	v_fmac_f16_e32 v2, 0xbb9c, v78
	v_fmamk_f16 v3, v74, 0xbb9c, v50
	v_fmac_f16_e32 v50, 0x3b9c, v74
	v_lshrrev_b32_e32 v26, 16, v60
	v_fmac_f16_e32 v4, 0xb8b4, v76
	v_fmac_f16_e32 v2, 0x38b4, v76
	;; [unrolled: 1-line block ×4, first 2 shown]
	s_delay_alu instid0(VALU_DEP_4) | instskip(NEXT) | instid1(VALU_DEP_4)
	v_fmac_f16_e32 v4, 0x34f2, v1
	v_fmac_f16_e32 v2, 0x34f2, v1
	s_delay_alu instid0(VALU_DEP_4) | instskip(NEXT) | instid1(VALU_DEP_4)
	v_fmac_f16_e32 v3, 0x34f2, v0
	v_fmac_f16_e32 v50, 0x34f2, v0
	s_delay_alu instid0(VALU_DEP_2) | instskip(NEXT) | instid1(VALU_DEP_2)
	v_pack_b32_f16 v0, v3, v4
	v_pack_b32_f16 v2, v50, v2
	v_lshrrev_b32_e32 v3, 16, v54
	ds_store_2addr_b32 v163, v0, v2 offset0:50 offset1:75
	v_lshrrev_b32_e32 v0, 16, v27
	v_lshrrev_b32_e32 v212, 16, v44
	;; [unrolled: 1-line block ×5, first 2 shown]
	s_delay_alu instid0(VALU_DEP_4)
	v_mul_f16_e64 v1, v0, v212
	v_mul_f16_e64 v2, v27, v212
	;; [unrolled: 1-line block ×4, first 2 shown]
	v_lshrrev_b32_e32 v215, 16, v41
	v_fma_f16 v1, v27, v44, -v1
	v_fmac_f16_e32 v2, v0, v44
	v_fmac_f16_e32 v24, v3, v46
	v_lshrrev_b32_e32 v0, 16, v58
	v_mul_f16_e64 v3, v58, v213
	v_mul_f16_e64 v27, v60, v211
	v_fma_f16 v4, v54, v46, -v4
	v_lshrrev_b32_e32 v54, 16, v56
	v_lshrrev_b32_e32 v214, 16, v43
	v_fmac_f16_e32 v3, v0, v45
	v_fmac_f16_e32 v27, v26, v47
	v_mul_f16_e64 v0, v0, v213
	v_add_f16_e32 v55, v54, v2
	v_mul_f16_e64 v26, v26, v211
	v_sub_f16_e32 v51, v2, v3
	v_sub_f16_e32 v53, v27, v24
	v_fma_f16 v0, v58, v45, -v0
	v_add_f16_e32 v55, v55, v3
	v_fma_f16 v26, v60, v47, -v26
	v_sub_f16_e32 v68, v3, v24
	v_add_f16_e32 v51, v51, v53
	v_add_f16_e32 v53, v56, v1
	;; [unrolled: 1-line block ×3, first 2 shown]
	v_sub_f16_e32 v49, v1, v0
	v_sub_f16_e32 v50, v26, v4
	;; [unrolled: 1-line block ×3, first 2 shown]
	v_add_f16_e32 v53, v53, v0
	v_add_f16_e32 v55, v55, v27
	v_add_f16_e32 v69, v3, v24
	v_add_f16_e32 v49, v49, v50
	v_pack_b32_f16 v50, v70, v75
	v_add_f16_e32 v53, v53, v4
	v_sub_f16_e32 v70, v1, v26
	v_sub_f16_e32 v58, v2, v27
	v_fma_f16 v69, -0.5, v69, v54
	ds_store_b32 v163, v50 offset:400
	v_add_f16_e32 v53, v53, v26
	v_mad_u16 v50, 0x7d, v84, v85
	v_lshrrev_b32_e32 v217, 16, v40
	v_fmamk_f16 v71, v70, 0xbb9c, v69
	v_lshrrev_b32_e32 v216, 16, v42
	v_pack_b32_f16 v53, v53, v55
	v_add_f16_e32 v55, v0, v4
	v_sub_f16_e32 v0, v0, v1
	v_sub_f16_e32 v4, v4, v26
	v_add_f16_e32 v1, v1, v26
	v_and_b32_e32 v50, 0xffff, v50
	v_fma_f16 v55, -0.5, v55, v56
	v_fmac_f16_e32 v71, 0xb8b4, v73
	v_add_f16_e32 v0, v0, v4
	v_add_f16_e32 v4, v2, v27
	v_fma_f16 v1, -0.5, v1, v56
	v_sub_f16_e32 v2, v3, v2
	v_sub_f16_e32 v3, v24, v27
	v_lshlrev_b32_e32 v167, 2, v50
	v_fmac_f16_e32 v54, -0.5, v4
	v_fmamk_f16 v4, v68, 0xbb9c, v1
	v_fmac_f16_e32 v1, 0x3b9c, v68
	v_fmamk_f16 v60, v58, 0x3b9c, v55
	v_mul_f16_e64 v24, v61, v214
	v_lshrrev_b32_e32 v26, 16, v66
	v_fmac_f16_e32 v4, 0x38b4, v58
	v_fmac_f16_e32 v1, 0xb8b4, v58
	;; [unrolled: 1-line block ×3, first 2 shown]
	v_mul_f16_e64 v27, v66, v216
	v_fmac_f16_e32 v71, 0x34f2, v51
	v_fmac_f16_e32 v4, 0x34f2, v0
	;; [unrolled: 1-line block ×3, first 2 shown]
	v_add_f16_e32 v0, v2, v3
	v_fmamk_f16 v2, v73, 0x3b9c, v54
	v_fmac_f16_e32 v54, 0xbb9c, v73
	v_lshrrev_b32_e32 v3, 16, v61
	v_fmac_f16_e32 v60, 0x34f2, v49
	v_fmac_f16_e32 v55, 0xbb9c, v58
	;; [unrolled: 1-line block ×9, first 2 shown]
	v_mul_f16_e64 v26, v26, v216
	v_pack_b32_f16 v60, v60, v71
	v_fmac_f16_e32 v55, 0xb8b4, v68
	v_pack_b32_f16 v0, v4, v2
	v_pack_b32_f16 v1, v1, v54
	v_mul_f16_e64 v2, v59, v215
	v_mul_f16_e64 v4, v3, v214
	;; [unrolled: 1-line block ×3, first 2 shown]
	v_fmac_f16_e32 v69, 0x38b4, v73
	ds_store_2addr_b32 v167, v0, v1 offset0:50 offset1:75
	v_lshrrev_b32_e32 v0, 16, v59
	v_fma_f16 v4, v61, v43, -v4
	v_fma_f16 v26, v66, v42, -v26
	ds_store_2addr_b32 v167, v53, v60 offset1:25
	v_fmac_f16_e32 v55, 0x34f2, v49
	v_mul_f16_e64 v1, v0, v215
	v_fmac_f16_e32 v2, v0, v41
	v_lshrrev_b32_e32 v0, 16, v62
	v_fmac_f16_e32 v69, 0x34f2, v51
	v_sub_f16_e32 v50, v4, v26
	v_fma_f16 v1, v59, v41, -v1
	v_sub_f16_e32 v53, v24, v27
	v_fmac_f16_e32 v3, v0, v40
	v_mul_f16_e64 v0, v0, v217
	v_lshrrev_b32_e32 v54, 16, v57
	v_sub_f16_e32 v59, v2, v27
	v_add_f16_e32 v60, v2, v27
	v_sub_f16_e32 v51, v3, v2
	v_fma_f16 v0, v62, v40, -v0
	v_sub_f16_e32 v56, v3, v24
	v_sub_f16_e32 v66, v1, v26
	v_fma_f16 v60, -0.5, v60, v54
	v_add_f16_e32 v51, v51, v53
	v_sub_f16_e32 v49, v0, v1
	v_add_f16_e32 v53, v57, v0
	v_sub_f16_e32 v61, v0, v4
	v_lshrrev_b32_e32 v221, 16, v32
	v_lshrrev_b32_e32 v220, 16, v34
	v_add_f16_e32 v49, v49, v50
	v_pack_b32_f16 v50, v55, v69
	v_add_f16_e32 v55, v54, v3
	v_add_f16_e32 v53, v53, v1
	v_fmamk_f16 v62, v61, 0xbb9c, v60
	v_lshrrev_b32_e32 v218, 16, v33
	ds_store_b32 v167, v50 offset:400
	v_add_f16_e32 v55, v55, v2
	v_add_f16_e32 v53, v53, v26
	v_sub_f16_e32 v2, v2, v3
	v_add_f16_e32 v3, v3, v24
	v_mad_u16 v50, 0x7d, v86, v165
	v_add_f16_e32 v55, v55, v27
	v_add_f16_e32 v53, v53, v4
	v_fmac_f16_e32 v62, 0xb8b4, v66
	v_fmac_f16_e32 v54, -0.5, v3
	v_and_b32_e32 v50, 0xffff, v50
	v_add_f16_e32 v55, v55, v24
	v_sub_f16_e32 v24, v27, v24
	v_lshrrev_b32_e32 v219, 16, v35
	v_fmamk_f16 v3, v66, 0x3b9c, v54
	v_fmac_f16_e32 v54, 0xbb9c, v66
	v_pack_b32_f16 v53, v53, v55
	v_add_f16_e32 v55, v1, v26
	v_sub_f16_e32 v1, v1, v0
	v_add_f16_e32 v0, v0, v4
	v_sub_f16_e32 v4, v26, v4
	v_fmac_f16_e32 v54, 0x38b4, v61
	v_fma_f16 v55, -0.5, v55, v57
	v_fmac_f16_e32 v3, 0xb8b4, v61
	v_fmac_f16_e32 v57, -0.5, v0
	v_add_f16_e32 v0, v1, v4
	v_add_f16_e32 v1, v2, v24
	v_fmamk_f16 v58, v56, 0x3b9c, v55
	v_lshlrev_b32_e32 v170, 2, v50
	v_fmamk_f16 v2, v59, 0xbb9c, v57
	v_fmac_f16_e32 v57, 0x3b9c, v59
	v_fmac_f16_e32 v54, 0x34f2, v1
	;; [unrolled: 1-line block ×6, first 2 shown]
	v_lshrrev_b32_e32 v26, 16, v67
	v_mul_f16_e64 v50, v67, v220
	v_fmac_f16_e32 v58, 0x34f2, v49
	v_fmac_f16_e32 v2, 0x34f2, v0
	;; [unrolled: 1-line block ×4, first 2 shown]
	v_mul_f16_e64 v24, v52, v218
	v_mul_f16_e64 v27, v26, v220
	v_pack_b32_f16 v0, v2, v3
	v_pack_b32_f16 v4, v57, v54
	v_mul_f16_e64 v2, v63, v221
	v_lshrrev_b32_e32 v3, 16, v52
	v_fmac_f16_e32 v60, 0x3b9c, v61
	v_fmac_f16_e32 v50, v26, v34
	ds_store_2addr_b32 v170, v0, v4 offset0:50 offset1:75
	v_lshrrev_b32_e32 v0, 16, v63
	v_mul_f16_e64 v26, v168, v219
	v_pack_b32_f16 v58, v58, v62
	v_mul_f16_e64 v4, v3, v218
	v_fmac_f16_e32 v24, v3, v33
	v_mul_f16_e64 v1, v0, v221
	v_fmac_f16_e32 v2, v0, v32
	v_lshrrev_b32_e32 v0, 16, v168
	v_fmac_f16_e32 v60, 0x38b4, v66
	ds_store_2addr_b32 v170, v53, v58 offset1:25
	v_fma_f16 v1, v63, v32, -v1
	v_fma_f16 v4, v52, v33, -v4
	v_fmac_f16_e32 v26, v0, v35
	v_fmac_f16_e32 v60, 0x34f2, v51
	v_sub_f16_e32 v51, v2, v24
	v_lshrrev_b32_e32 v53, 16, v48
	v_fma_f16 v27, v67, v34, -v27
	v_sub_f16_e32 v52, v26, v50
	v_mul_f16_e64 v3, v0, v219
	v_fmac_f16_e32 v55, 0xbb9c, v56
	v_add_f16_e32 v54, v53, v2
	v_sub_f16_e32 v0, v1, v4
	v_add_f16_e32 v51, v51, v52
	v_add_f16_e32 v52, v48, v1
	v_fma_f16 v3, v168, v35, -v3
	v_add_f16_e32 v54, v54, v24
	v_fmac_f16_e32 v55, 0xb8b4, v59
	v_add_f16_e32 v58, v24, v50
	v_add_f16_e32 v52, v52, v4
	v_sub_f16_e32 v59, v1, v3
	v_add_f16_e32 v54, v54, v50
	v_fmac_f16_e32 v55, 0x34f2, v49
	v_sub_f16_e32 v49, v3, v27
	v_add_f16_e32 v52, v52, v27
	v_fma_f16 v58, -0.5, v58, v53
	v_add_f16_e32 v54, v54, v26
	v_sub_f16_e32 v57, v24, v50
	v_add_f16_e32 v0, v0, v49
	v_add_f16_e32 v52, v52, v3
	v_pack_b32_f16 v49, v55, v60
	v_sub_f16_e32 v55, v2, v26
	v_fmamk_f16 v60, v59, 0xbb9c, v58
	v_sub_f16_e32 v61, v4, v27
	v_pack_b32_f16 v52, v52, v54
	v_add_f16_e32 v54, v4, v27
	v_sub_f16_e32 v4, v4, v1
	v_add_f16_e32 v1, v1, v3
	v_sub_f16_e32 v24, v24, v2
	v_add_f16_e32 v2, v2, v26
	v_fma_f16 v54, -0.5, v54, v48
	v_fmac_f16_e32 v58, 0x3b9c, v59
	ds_store_b32 v170, v49 offset:400
	v_mad_u16 v49, 0x7d, v164, v166
	v_sub_f16_e32 v3, v27, v3
	v_fmamk_f16 v56, v55, 0x3b9c, v54
	v_fmac_f16_e32 v54, 0xbb9c, v55
	v_fmac_f16_e32 v48, -0.5, v1
	v_fmac_f16_e32 v53, -0.5, v2
	v_fmac_f16_e32 v58, 0x38b4, v61
	v_fmac_f16_e32 v56, 0x38b4, v57
	;; [unrolled: 1-line block ×3, first 2 shown]
	v_and_b32_e32 v49, 0xffff, v49
	v_sub_f16_e32 v26, v50, v26
	v_add_f16_e32 v1, v4, v3
	v_fmamk_f16 v3, v57, 0xbb9c, v48
	v_fmac_f16_e32 v48, 0x3b9c, v57
	v_fmamk_f16 v4, v61, 0x3b9c, v53
	v_fmac_f16_e32 v53, 0xbb9c, v61
	v_fmac_f16_e32 v54, 0x34f2, v0
	;; [unrolled: 1-line block ×4, first 2 shown]
	v_lshlrev_b32_e32 v171, 2, v49
	v_add_f16_e32 v2, v24, v26
	v_fmac_f16_e32 v48, 0xb8b4, v55
	v_fmac_f16_e32 v53, 0x38b4, v59
	;; [unrolled: 1-line block ×4, first 2 shown]
	v_pack_b32_f16 v0, v54, v58
	v_fmac_f16_e32 v48, 0x34f2, v1
	v_fmac_f16_e32 v53, 0x34f2, v2
	;; [unrolled: 1-line block ×4, first 2 shown]
	ds_store_b32 v171, v0 offset:400
	v_mul_u32_u24_e32 v0, 0x625, v25
	v_pack_b32_f16 v24, v48, v53
	v_fmac_f16_e32 v60, 0xb8b4, v61
	v_pack_b32_f16 v1, v3, v4
	s_delay_alu instid0(VALU_DEP_4) | instskip(NEXT) | instid1(VALU_DEP_3)
	v_lshrrev_b32_e32 v0, 16, v0
	v_fmac_f16_e32 v60, 0x34f2, v51
	ds_store_2addr_b32 v171, v1, v24 offset0:50 offset1:75
	v_sub_nc_u16 v1, v65, v0
	v_pack_b32_f16 v56, v56, v60
	s_delay_alu instid0(VALU_DEP_2)
	v_lshrrev_b16 v1, 1, v1
	ds_store_2addr_b32 v171, v52, v56 offset1:25
	global_wb scope:SCOPE_SE
	s_wait_dscnt 0x0
	s_barrier_signal -1
	v_add_nc_u16 v24, v1, v0
	v_mul_u32_u24_e32 v0, 0x625, v7
	v_lshlrev_b32_e32 v7, 4, v138
	s_barrier_wait -1
	global_inv scope:SCOPE_SE
	v_lshrrev_b32_e32 v0, 16, v0
	s_delay_alu instid0(VALU_DEP_1) | instskip(NEXT) | instid1(VALU_DEP_1)
	v_sub_nc_u16 v1, v64, v0
	v_lshrrev_b16 v1, 1, v1
	s_delay_alu instid0(VALU_DEP_1) | instskip(SKIP_1) | instid1(VALU_DEP_2)
	v_add_nc_u16 v4, v1, v0
	v_mul_u32_u24_e32 v0, 0x625, v5
	v_lshrrev_b16 v4, 6, v4
	s_delay_alu instid0(VALU_DEP_2) | instskip(NEXT) | instid1(VALU_DEP_2)
	v_lshrrev_b32_e32 v0, 16, v0
	v_mul_lo_u16 v4, 0x7d, v4
	s_delay_alu instid0(VALU_DEP_2) | instskip(NEXT) | instid1(VALU_DEP_2)
	v_sub_nc_u16 v1, v72, v0
	v_sub_nc_u16 v183, v64, v4
	s_delay_alu instid0(VALU_DEP_2) | instskip(SKIP_1) | instid1(VALU_DEP_3)
	v_lshrrev_b16 v1, 1, v1
	v_lshlrev_b32_e32 v64, 4, v64
	v_lshlrev_b16 v4, 4, v183
	s_delay_alu instid0(VALU_DEP_3) | instskip(SKIP_1) | instid1(VALU_DEP_3)
	v_add_nc_u16 v5, v1, v0
	v_lshrrev_b16 v0, 6, v24
	v_and_b32_e32 v4, 0xffff, v4
	s_delay_alu instid0(VALU_DEP_3) | instskip(NEXT) | instid1(VALU_DEP_3)
	v_lshrrev_b16 v5, 6, v5
	v_mul_lo_u16 v0, 0x7d, v0
	s_delay_alu instid0(VALU_DEP_2) | instskip(NEXT) | instid1(VALU_DEP_2)
	v_mul_lo_u16 v5, 0x7d, v5
	v_sub_nc_u16 v0, v65, v0
	v_lshlrev_b32_e32 v65, 4, v65
	s_delay_alu instid0(VALU_DEP_3) | instskip(NEXT) | instid1(VALU_DEP_3)
	v_sub_nc_u16 v222, v72, v5
	v_lshlrev_b16 v1, 4, v0
	v_and_b32_e32 v0, 0xffff, v0
	v_lshlrev_b32_e32 v72, 4, v72
	s_delay_alu instid0(VALU_DEP_4) | instskip(NEXT) | instid1(VALU_DEP_4)
	v_lshlrev_b16 v5, 4, v222
	v_and_b32_e32 v1, 0xffff, v1
	s_delay_alu instid0(VALU_DEP_1)
	v_add_co_u32 v24, s2, s6, v1
	s_wait_alu 0xf1ff
	v_add_co_ci_u32_e64 v25, null, s7, 0, s2
	s_clause 0x1
	global_load_b128 v[52:55], v[24:25], off offset:480
	global_load_b128 v[48:51], v7, s[6:7] offset:480
	ds_load_2addr_b32 v[24:25], v143 offset0:116 offset1:241
	ds_load_2addr_b32 v[26:27], v141 offset0:98 offset1:223
	ds_load_2addr_b32 v[66:67], v142 offset0:86 offset1:211
	ds_load_2addr_b32 v[68:69], v139 offset0:68 offset1:193
	v_add_co_u32 v4, s2, s6, v4
	s_wait_dscnt 0x3
	v_lshrrev_b32_e32 v1, 16, v25
	s_wait_dscnt 0x2
	v_lshrrev_b32_e32 v3, 16, v26
	;; [unrolled: 2-line block ×4, first 2 shown]
	s_wait_loadcnt 0x1
	v_lshrrev_b32_e32 v228, 16, v52
	s_wait_loadcnt 0x0
	v_lshrrev_b32_e32 v204, 16, v48
	v_lshrrev_b32_e32 v209, 16, v49
	;; [unrolled: 1-line block ×5, first 2 shown]
	v_mul_f16_e64 v2, v25, v204
	v_mul_f16_e64 v75, v26, v209
	;; [unrolled: 1-line block ×4, first 2 shown]
	v_lshrrev_b32_e32 v229, 16, v53
	v_fmac_f16_e32 v2, v1, v48
	v_mul_f16_e64 v1, v1, v204
	v_fmac_f16_e32 v75, v3, v49
	v_mul_f16_e64 v3, v3, v209
	v_fmac_f16_e32 v76, v56, v50
	v_mul_f16_e64 v56, v56, v208
	v_fmac_f16_e32 v81, v57, v51
	v_mul_f16_e64 v57, v57, v207
	v_fma_f16 v1, v25, v48, -v1
	v_fma_f16 v3, v26, v49, -v3
	v_fma_f16 v82, v67, v50, -v56
	v_sub_f16_e64 v166, v2, v81
	v_fma_f16 v83, v68, v51, -v57
	v_sub_f16_e64 v175, v75, v76
	v_sub_f16_e32 v25, v1, v3
	v_sub_f16_e64 v179, v3, v82
	v_lshrrev_b32_e32 v226, 16, v55
	v_sub_f16_e32 v26, v83, v82
	v_sub_f16_e64 v178, v1, v83
	s_delay_alu instid0(VALU_DEP_2) | instskip(SKIP_2) | instid1(VALU_DEP_1)
	v_add_f16_e32 v84, v25, v26
	v_sub_f16_e32 v25, v2, v75
	v_sub_f16_e32 v26, v81, v76
	v_add_f16_e32 v85, v25, v26
	ds_load_2addr_b32 v[25:26], v87 offset1:125
	ds_load_b32 v223, v87 offset:12000
	ds_load_2addr_b32 v[67:68], v129 offset0:110 offset1:235
	ds_load_2addr_b32 v[70:71], v122 offset0:80 offset1:205
	;; [unrolled: 1-line block ×7, first 2 shown]
	s_wait_dscnt 0x8
	v_lshrrev_b32_e32 v86, 16, v25
	v_add_f16_e32 v56, v25, v1
	s_delay_alu instid0(VALU_DEP_2) | instskip(NEXT) | instid1(VALU_DEP_2)
	v_add_f16_e32 v57, v86, v2
	v_add_f16_e32 v56, v56, v3
	s_delay_alu instid0(VALU_DEP_2) | instskip(NEXT) | instid1(VALU_DEP_2)
	v_add_f16_e32 v57, v57, v75
	;; [unrolled: 3-line block ×3, first 2 shown]
	v_add_f16_e32 v56, v56, v83
	s_delay_alu instid0(VALU_DEP_2) | instskip(NEXT) | instid1(VALU_DEP_1)
	v_add_f16_e32 v57, v57, v81
	v_pack_b32_f16 v164, v56, v57
	v_add_f16_e32 v56, v3, v82
	v_add_f16_e32 v57, v75, v76
	v_sub_f16_e32 v3, v3, v1
	v_add_f16_e32 v1, v1, v83
	s_delay_alu instid0(VALU_DEP_4) | instskip(NEXT) | instid1(VALU_DEP_4)
	v_fma_f16 v165, -0.5, v56, v25
	v_fma_f16 v177, -0.5, v57, v86
	s_delay_alu instid0(VALU_DEP_3) | instskip(SKIP_1) | instid1(VALU_DEP_4)
	v_fma_f16 v1, -0.5, v1, v25
	v_mul_f16_e64 v25, v69, v207
	v_fma_f16 v56, 0x3b9c, v166, v165
	s_delay_alu instid0(VALU_DEP_4) | instskip(SKIP_2) | instid1(VALU_DEP_4)
	v_fma_f16 v57, 0xbb9c, v178, v177
	v_fmac_f16_e64 v165, 0xbb9c, v166
	v_fmac_f16_e64 v177, 0x3b9c, v178
	;; [unrolled: 1-line block ×3, first 2 shown]
	s_delay_alu instid0(VALU_DEP_4) | instskip(NEXT) | instid1(VALU_DEP_4)
	v_fmac_f16_e64 v57, 0xb8b4, v179
	v_fmac_f16_e64 v165, 0xb8b4, v175
	s_delay_alu instid0(VALU_DEP_4) | instskip(NEXT) | instid1(VALU_DEP_4)
	v_fmac_f16_e64 v177, 0x38b4, v179
	v_fmac_f16_e32 v56, 0x34f2, v84
	s_delay_alu instid0(VALU_DEP_4) | instskip(NEXT) | instid1(VALU_DEP_4)
	v_fmac_f16_e32 v57, 0x34f2, v85
	v_fmac_f16_e64 v165, 0x34f2, v84
	s_delay_alu instid0(VALU_DEP_4) | instskip(NEXT) | instid1(VALU_DEP_3)
	v_fmac_f16_e64 v177, 0x34f2, v85
	v_pack_b32_f16 v182, v56, v57
	v_and_b32_e32 v56, 0xffff, v5
	s_wait_alu 0xf1ff
	v_add_co_ci_u32_e64 v5, null, s7, 0, s2
	s_delay_alu instid0(VALU_DEP_2)
	v_add_co_u32 v56, s2, s6, v56
	s_wait_alu 0xf1ff
	v_add_co_ci_u32_e64 v57, null, s7, 0, s2
	s_clause 0x1
	global_load_b128 v[60:63], v[4:5], off offset:480
	global_load_b128 v[56:59], v[56:57], off offset:480
	v_sub_f16_e32 v4, v82, v83
	v_fma_f16 v5, 0xbb9c, v175, v1
	v_fmac_f16_e64 v1, 0x3b9c, v175
	global_wb scope:SCOPE_SE
	s_wait_loadcnt_dscnt 0x0
	s_barrier_signal -1
	v_add_f16_e32 v3, v3, v4
	v_add_f16_e32 v4, v2, v81
	v_fmac_f16_e64 v5, 0x38b4, v166
	v_fmac_f16_e64 v1, 0xb8b4, v166
	v_sub_f16_e32 v2, v75, v2
	s_barrier_wait -1
	v_fmac_f16_e32 v86, -0.5, v4
	v_sub_f16_e32 v4, v76, v81
	v_fmac_f16_e32 v5, 0x34f2, v3
	v_fmac_f16_e32 v1, 0x34f2, v3
	global_inv scope:SCOPE_SE
	v_fma_f16 v3, 0x3b9c, v179, v86
	v_fmac_f16_e64 v86, 0xbb9c, v179
	v_add_f16_e32 v2, v2, v4
	ds_store_2addr_b32 v87, v164, v182 offset1:125
	v_lshrrev_b32_e32 v4, 16, v69
	v_fmac_f16_e64 v3, 0xb8b4, v178
	v_fmac_f16_e64 v86, 0x38b4, v178
	v_mul_f16_e64 v75, v70, v208
	s_add_nc_u64 s[2:3], s[4:5], 0x30d4
	v_fmac_f16_e32 v25, v4, v51
	v_fmac_f16_e32 v3, 0x34f2, v2
	;; [unrolled: 1-line block ×3, first 2 shown]
	s_delay_alu instid0(VALU_DEP_2) | instskip(NEXT) | instid1(VALU_DEP_2)
	v_pack_b32_f16 v2, v5, v3
	v_pack_b32_f16 v1, v1, v86
	v_mul_f16_e64 v5, v4, v207
	v_mul_f16_e64 v3, v27, v209
	v_lshrrev_b32_e32 v4, 16, v67
	ds_store_2addr_b32 v117, v2, v1 offset0:122 offset1:247
	v_lshrrev_b32_e32 v1, 16, v27
	v_fma_f16 v5, v69, v51, -v5
	v_lshrrev_b32_e32 v69, 16, v70
	s_delay_alu instid0(VALU_DEP_3) | instskip(SKIP_1) | instid1(VALU_DEP_3)
	v_mul_f16_e64 v2, v1, v209
	v_fmac_f16_e32 v3, v1, v49
	v_fmac_f16_e32 v75, v69, v50
	v_mul_f16_e64 v69, v69, v208
	v_pack_b32_f16 v1, v165, v177
	v_fma_f16 v2, v27, v49, -v2
	v_mul_f16_e64 v27, v67, v204
	v_sub_f16_e32 v84, v25, v75
	v_lshlrev_b32_e32 v165, 2, v0
	s_delay_alu instid0(VALU_DEP_3) | instskip(SKIP_1) | instid1(VALU_DEP_3)
	v_fmac_f16_e32 v27, v4, v48
	v_mul_f16_e64 v4, v4, v204
	v_add_nc_u32_e32 v120, 0x1600, v165
	v_add_nc_u32_e32 v189, 0x1200, v165
	s_delay_alu instid0(VALU_DEP_4) | instskip(NEXT) | instid1(VALU_DEP_4)
	v_sub_f16_e32 v82, v27, v3
	v_fma_f16 v4, v67, v48, -v4
	v_fma_f16 v67, v70, v50, -v69
	v_lshrrev_b32_e32 v70, 16, v26
	v_sub_f16_e32 v83, v27, v25
	s_delay_alu instid0(VALU_DEP_4) | instskip(NEXT) | instid1(VALU_DEP_4)
	v_add_f16_e32 v69, v26, v4
	v_sub_f16_e32 v81, v67, v5
	s_delay_alu instid0(VALU_DEP_4) | instskip(NEXT) | instid1(VALU_DEP_3)
	v_add_f16_e32 v76, v70, v27
	v_add_f16_e32 v69, v69, v2
	s_delay_alu instid0(VALU_DEP_2) | instskip(NEXT) | instid1(VALU_DEP_2)
	v_add_f16_e32 v76, v76, v3
	v_add_f16_e32 v69, v69, v67
	s_delay_alu instid0(VALU_DEP_2) | instskip(NEXT) | instid1(VALU_DEP_2)
	v_add_f16_e32 v76, v76, v75
	v_add_f16_e32 v69, v69, v5
	s_delay_alu instid0(VALU_DEP_2) | instskip(NEXT) | instid1(VALU_DEP_1)
	v_add_f16_e32 v76, v76, v25
	v_pack_b32_f16 v69, v69, v76
	v_add_f16_e32 v76, v4, v5
	ds_store_2addr_b32 v143, v1, v69 offset0:116 offset1:241
	v_sub_f16_e32 v1, v4, v2
	v_sub_f16_e32 v69, v5, v67
	s_delay_alu instid0(VALU_DEP_1) | instskip(SKIP_1) | instid1(VALU_DEP_1)
	v_add_f16_e32 v1, v1, v69
	v_add_f16_e32 v69, v2, v67
	v_fma_f16 v69, -0.5, v69, v26
	v_fmac_f16_e32 v26, -0.5, v76
	v_sub_f16_e32 v76, v2, v4
	v_sub_f16_e32 v4, v4, v5
	;; [unrolled: 1-line block ×4, first 2 shown]
	v_add_f16_e32 v67, v82, v84
	v_add_f16_e32 v76, v76, v81
	;; [unrolled: 1-line block ×3, first 2 shown]
	v_sub_f16_e32 v3, v3, v27
	v_add_f16_e32 v27, v27, v25
	v_sub_f16_e32 v25, v75, v25
	s_delay_alu instid0(VALU_DEP_4) | instskip(NEXT) | instid1(VALU_DEP_3)
	v_fma_f16 v75, -0.5, v81, v70
	v_fmac_f16_e32 v70, -0.5, v27
	s_delay_alu instid0(VALU_DEP_3) | instskip(SKIP_1) | instid1(VALU_DEP_4)
	v_add_f16_e32 v3, v3, v25
	v_fmamk_f16 v25, v83, 0x3b9c, v69
	v_fmamk_f16 v27, v4, 0xbb9c, v75
	v_fmac_f16_e32 v69, 0xbb9c, v83
	v_fmamk_f16 v81, v2, 0x3b9c, v70
	v_fmac_f16_e32 v70, 0xbb9c, v2
	v_fmac_f16_e32 v25, 0x38b4, v5
	;; [unrolled: 1-line block ×12, first 2 shown]
	v_pack_b32_f16 v25, v25, v27
	v_fmamk_f16 v27, v5, 0xbb9c, v26
	v_fmac_f16_e32 v26, 0x3b9c, v5
	v_fmac_f16_e32 v69, 0x34f2, v1
	;; [unrolled: 1-line block ×3, first 2 shown]
	v_lshrrev_b32_e32 v4, 16, v71
	v_fmac_f16_e32 v27, 0x38b4, v83
	v_fmac_f16_e32 v26, 0xb8b4, v83
	s_delay_alu instid0(VALU_DEP_4) | instskip(NEXT) | instid1(VALU_DEP_4)
	v_pack_b32_f16 v1, v69, v75
	v_mul_f16_e64 v5, v4, v225
	s_delay_alu instid0(VALU_DEP_4) | instskip(NEXT) | instid1(VALU_DEP_4)
	v_fmac_f16_e32 v27, 0x34f2, v76
	v_fmac_f16_e32 v26, 0x34f2, v76
	s_delay_alu instid0(VALU_DEP_3) | instskip(NEXT) | instid1(VALU_DEP_3)
	v_fma_f16 v5, v71, v54, -v5
	v_pack_b32_f16 v27, v27, v81
	s_delay_alu instid0(VALU_DEP_3)
	v_pack_b32_f16 v3, v26, v70
	v_lshrrev_b32_e32 v26, 16, v79
	v_lshrrev_b32_e32 v70, 16, v73
	ds_store_2addr_b32 v129, v25, v27 offset0:110 offset1:235
	ds_store_2addr_b32 v101, v3, v1 offset0:104 offset1:229
	v_lshrrev_b32_e32 v1, 16, v68
	v_mul_f16_e64 v3, v68, v228
	v_mul_f16_e64 v25, v71, v225
	;; [unrolled: 1-line block ×3, first 2 shown]
	s_delay_alu instid0(VALU_DEP_4) | instskip(NEXT) | instid1(VALU_DEP_4)
	v_mul_f16_e64 v2, v1, v228
	v_fmac_f16_e32 v3, v1, v52
	s_delay_alu instid0(VALU_DEP_4)
	v_fmac_f16_e32 v25, v4, v54
	v_lshrrev_b32_e32 v1, 16, v77
	v_mul_f16_e64 v4, v77, v229
	v_fmac_f16_e32 v27, v26, v55
	v_mul_f16_e64 v26, v26, v226
	v_fma_f16 v2, v68, v52, -v2
	v_add_f16_e32 v71, v70, v3
	v_fmac_f16_e32 v4, v1, v53
	v_mul_f16_e64 v1, v1, v229
	v_fma_f16 v26, v79, v55, -v26
	v_sub_f16_e32 v69, v27, v25
	v_sub_f16_e32 v75, v3, v27
	v_add_f16_e32 v71, v71, v4
	v_fma_f16 v1, v77, v53, -v1
	v_sub_f16_e32 v68, v26, v5
	v_sub_f16_e32 v81, v2, v26
	;; [unrolled: 1-line block ×3, first 2 shown]
	v_add_f16_e32 v71, v71, v25
	v_sub_f16_e32 v67, v2, v1
	v_sub_f16_e32 v83, v1, v5
	;; [unrolled: 1-line block ×3, first 2 shown]
	v_add_f16_e32 v79, v4, v25
	v_add_f16_e32 v71, v71, v27
	;; [unrolled: 1-line block ×3, first 2 shown]
	v_sub_f16_e32 v68, v3, v4
	s_delay_alu instid0(VALU_DEP_4) | instskip(NEXT) | instid1(VALU_DEP_2)
	v_fma_f16 v79, -0.5, v79, v70
	v_add_f16_e32 v68, v68, v69
	v_add_f16_e32 v69, v73, v2
	v_add_f16_e32 v2, v2, v26
	s_delay_alu instid0(VALU_DEP_4) | instskip(SKIP_1) | instid1(VALU_DEP_4)
	v_fmamk_f16 v82, v81, 0xbb9c, v79
	v_fmac_f16_e32 v79, 0x3b9c, v81
	v_add_f16_e32 v69, v69, v1
	s_delay_alu instid0(VALU_DEP_4) | instskip(NEXT) | instid1(VALU_DEP_4)
	v_fma_f16 v2, -0.5, v2, v73
	v_fmac_f16_e32 v82, 0xb8b4, v83
	s_delay_alu instid0(VALU_DEP_4) | instskip(NEXT) | instid1(VALU_DEP_4)
	v_fmac_f16_e32 v79, 0x38b4, v83
	v_add_f16_e32 v69, v69, v5
	s_delay_alu instid0(VALU_DEP_3) | instskip(NEXT) | instid1(VALU_DEP_3)
	v_fmac_f16_e32 v82, 0x34f2, v68
	v_fmac_f16_e32 v79, 0x34f2, v68
	s_delay_alu instid0(VALU_DEP_3) | instskip(NEXT) | instid1(VALU_DEP_1)
	v_add_f16_e32 v69, v69, v26
	v_pack_b32_f16 v69, v69, v71
	v_add_f16_e32 v71, v1, v5
	v_sub_f16_e32 v1, v5, v26
	s_delay_alu instid0(VALU_DEP_2) | instskip(NEXT) | instid1(VALU_DEP_2)
	v_fma_f16 v71, -0.5, v71, v73
	v_add_f16_e32 v0, v0, v1
	v_add_f16_e32 v1, v3, v27
	v_lshrrev_b32_e32 v73, 16, v74
	s_delay_alu instid0(VALU_DEP_4) | instskip(SKIP_1) | instid1(VALU_DEP_4)
	v_fmamk_f16 v76, v75, 0x3b9c, v71
	v_fmac_f16_e32 v71, 0xbb9c, v75
	v_fmac_f16_e32 v70, -0.5, v1
	v_sub_f16_e32 v1, v4, v3
	v_fmamk_f16 v4, v77, 0xbb9c, v2
	v_fmac_f16_e32 v2, 0x3b9c, v77
	v_sub_f16_e32 v3, v25, v27
	v_fmac_f16_e32 v76, 0x38b4, v77
	v_lshrrev_b32_e32 v25, 16, v172
	v_fmac_f16_e32 v4, 0x38b4, v75
	v_fmac_f16_e32 v2, 0xb8b4, v75
	;; [unrolled: 1-line block ×4, first 2 shown]
	s_delay_alu instid0(VALU_DEP_4) | instskip(NEXT) | instid1(VALU_DEP_4)
	v_fmac_f16_e32 v4, 0x34f2, v0
	v_fmac_f16_e32 v2, 0x34f2, v0
	v_add_f16_e32 v0, v1, v3
	v_fmamk_f16 v1, v83, 0x3b9c, v70
	v_fmac_f16_e32 v70, 0xbb9c, v83
	v_lshrrev_b32_e32 v3, 16, v80
	v_pack_b32_f16 v76, v76, v82
	v_fmac_f16_e32 v71, 0x34f2, v67
	v_fmac_f16_e32 v1, 0xb8b4, v81
	;; [unrolled: 1-line block ×3, first 2 shown]
	ds_store_2addr_b32 v189, v69, v76 offset0:98 offset1:223
	v_fmac_f16_e32 v1, 0x34f2, v0
	v_fmac_f16_e32 v70, 0x34f2, v0
	s_delay_alu instid0(VALU_DEP_2) | instskip(NEXT) | instid1(VALU_DEP_2)
	v_pack_b32_f16 v0, v4, v1
	v_pack_b32_f16 v1, v2, v70
	ds_store_2addr_b32 v120, v0, v1 offset0:92 offset1:217
	v_lshrrev_b32_e32 v0, 16, v78
	v_lshrrev_b32_e32 v237, 16, v61
	;; [unrolled: 1-line block ×6, first 2 shown]
	v_mul_f16_e64 v2, v78, v237
	v_mul_f16_e64 v5, v80, v231
	;; [unrolled: 1-line block ×5, first 2 shown]
	v_fmac_f16_e32 v2, v0, v61
	v_fmac_f16_e32 v5, v3, v63
	v_lshrrev_b32_e32 v0, 16, v168
	v_mul_f16_e64 v3, v168, v235
	v_fmac_f16_e32 v26, v25, v62
	v_mul_f16_e64 v25, v25, v233
	v_fma_f16 v1, v78, v61, -v1
	v_fma_f16 v4, v80, v63, -v4
	v_fmac_f16_e32 v3, v0, v60
	v_mul_f16_e64 v0, v0, v235
	v_fma_f16 v25, v172, v62, -v25
	v_sub_f16_e32 v70, v5, v26
	v_add_f16_e32 v84, v2, v26
	v_add_f16_e32 v76, v73, v3
	v_fma_f16 v0, v168, v60, -v0
	v_sub_f16_e32 v69, v4, v25
	v_sub_f16_e32 v78, v3, v5
	v_fma_f16 v84, -0.5, v84, v73
	v_add_f16_e32 v76, v76, v2
	v_sub_f16_e32 v27, v0, v1
	v_sub_f16_e32 v85, v0, v4
	;; [unrolled: 1-line block ×3, first 2 shown]
	v_sub_f16_e64 v164, v1, v25
	v_add_f16_e32 v76, v76, v26
	v_add_f16_e32 v27, v27, v69
	v_sub_f16_e32 v69, v3, v2
	v_fmamk_f16 v86, v85, 0xbb9c, v84
	v_sub_f16_e32 v2, v2, v3
	v_add_f16_e32 v76, v76, v5
	v_add_f16_e32 v3, v3, v5
	;; [unrolled: 1-line block ×4, first 2 shown]
	v_fmac_f16_e64 v86, 0xb8b4, v164
	v_sub_f16_e32 v5, v26, v5
	v_fmac_f16_e32 v73, -0.5, v3
	v_lshrrev_b32_e32 v241, 16, v57
	v_add_f16_e32 v70, v70, v1
	v_fmac_f16_e32 v86, 0x34f2, v69
	v_lshrrev_b32_e32 v243, 16, v58
	v_fma_f16 v3, 0x3b9c, v164, v73
	v_fmac_f16_e64 v73, 0xbb9c, v164
	v_add_f16_e32 v70, v70, v25
	v_lshrrev_b32_e32 v242, 16, v59
	v_fmac_f16_e32 v84, 0x3b9c, v85
	v_fmac_f16_e32 v3, 0xb8b4, v85
	;; [unrolled: 1-line block ×3, first 2 shown]
	v_add_f16_e32 v70, v70, v4
	s_delay_alu instid0(VALU_DEP_4) | instskip(NEXT) | instid1(VALU_DEP_2)
	v_fmac_f16_e64 v84, 0x38b4, v164
	v_pack_b32_f16 v70, v70, v76
	v_add_f16_e32 v76, v1, v25
	v_sub_f16_e32 v1, v1, v0
	v_add_f16_e32 v0, v0, v4
	v_sub_f16_e32 v4, v25, v4
	v_lshrrev_b32_e32 v25, 16, v173
	v_fma_f16 v76, -0.5, v76, v74
	v_fmac_f16_e32 v84, 0x34f2, v69
	v_fmac_f16_e32 v74, -0.5, v0
	v_add_f16_e32 v0, v1, v4
	v_add_f16_e32 v1, v2, v5
	v_fmamk_f16 v80, v78, 0x3b9c, v76
	v_mul_f16_e64 v5, v66, v241
	v_fmamk_f16 v2, v82, 0xbb9c, v74
	v_fmac_f16_e32 v74, 0x3b9c, v82
	v_fmac_f16_e32 v73, 0x34f2, v1
	;; [unrolled: 1-line block ×6, first 2 shown]
	v_mul_f16_e64 v26, v25, v243
	v_fmac_f16_e32 v80, 0x34f2, v27
	v_fmac_f16_e32 v76, 0xbb9c, v78
	;; [unrolled: 1-line block ×4, first 2 shown]
	v_fma_f16 v26, v173, v58, -v26
	v_pack_b32_f16 v80, v80, v86
	v_and_b32_e32 v86, 0xffff, v183
	v_pack_b32_f16 v0, v2, v3
	v_pack_b32_f16 v4, v74, v73
	v_mul_f16_e64 v2, v169, v244
	v_lshrrev_b32_e32 v3, 16, v66
	v_lshlrev_b32_e32 v172, 2, v86
	v_lshrrev_b32_e32 v74, 16, v24
	v_fmac_f16_e32 v76, 0xb8b4, v82
	s_delay_alu instid0(VALU_DEP_4) | instskip(NEXT) | instid1(VALU_DEP_4)
	v_fmac_f16_e32 v5, v3, v57
	v_add_nc_u32_e32 v177, 0x2000, v172
	v_add_nc_u32_e32 v179, 0x1c00, v172
	s_delay_alu instid0(VALU_DEP_4)
	v_fmac_f16_e32 v76, 0x34f2, v27
	ds_store_2addr_b32 v177, v0, v4 offset0:77 offset1:202
	v_lshrrev_b32_e32 v0, 16, v169
	v_mul_f16_e64 v4, v3, v241
	ds_store_2addr_b32 v179, v70, v80 offset0:83 offset1:208
	v_mul_f16_e64 v1, v0, v244
	v_fmac_f16_e32 v2, v0, v56
	v_lshrrev_b32_e32 v0, 16, v223
	v_fma_f16 v4, v66, v57, -v4
	v_mul_f16_e64 v66, v173, v243
	v_fma_f16 v1, v169, v56, -v1
	v_add_f16_e32 v80, v74, v2
	v_mul_f16_e64 v3, v0, v242
	v_sub_f16_e64 v178, v4, v26
	v_fmac_f16_e32 v66, v25, v58
	v_mul_f16_e64 v25, v223, v242
	v_add_f16_e32 v80, v80, v5
	v_fma_f16 v3, v223, v59, -v3
	s_delay_alu instid0(VALU_DEP_4) | instskip(NEXT) | instid1(VALU_DEP_4)
	v_add_f16_e64 v169, v5, v66
	v_fmac_f16_e32 v25, v0, v59
	v_sub_f16_e32 v0, v1, v4
	s_delay_alu instid0(VALU_DEP_4)
	v_sub_f16_e32 v70, v3, v26
	v_add_f16_e32 v80, v80, v66
	v_fma_f16 v169, -0.5, v169, v74
	v_sub_f16_e32 v73, v25, v66
	v_sub_f16_e32 v86, v2, v25
	v_add_f16_e32 v0, v0, v70
	v_sub_f16_e32 v70, v2, v5
	v_add_f16_e32 v80, v80, v25
	v_sub_f16_e64 v175, v1, v3
	v_sub_f16_e64 v168, v5, v66
	v_sub_f16_e32 v5, v5, v2
	v_add_f16_e32 v70, v70, v73
	v_add_f16_e32 v73, v24, v1
	v_fma_f16 v173, 0xbb9c, v175, v169
	v_add_f16_e32 v2, v2, v25
	v_sub_f16_e32 v25, v66, v25
	v_fmac_f16_e64 v169, 0x3b9c, v175
	v_add_f16_e32 v73, v73, v4
	v_fmac_f16_e64 v173, 0xb8b4, v178
	v_fmac_f16_e32 v74, -0.5, v2
	v_add_f16_e32 v2, v5, v25
	v_fmac_f16_e64 v169, 0x38b4, v178
	v_add_f16_e32 v73, v73, v26
	v_fmac_f16_e64 v173, 0x34f2, v70
	s_delay_alu instid0(VALU_DEP_3) | instskip(NEXT) | instid1(VALU_DEP_3)
	v_fmac_f16_e64 v169, 0x34f2, v70
	v_add_f16_e32 v73, v73, v3
	s_delay_alu instid0(VALU_DEP_1) | instskip(SKIP_4) | instid1(VALU_DEP_4)
	v_pack_b32_f16 v73, v73, v80
	v_add_f16_e32 v80, v4, v26
	v_sub_f16_e32 v4, v4, v1
	v_add_f16_e32 v1, v1, v3
	v_sub_f16_e32 v3, v26, v3
	v_fma_f16 v80, -0.5, v80, v24
	s_delay_alu instid0(VALU_DEP_3) | instskip(NEXT) | instid1(VALU_DEP_3)
	v_fmac_f16_e32 v24, -0.5, v1
	v_add_f16_e32 v1, v4, v3
	v_fma_f16 v4, 0x3b9c, v178, v74
	s_delay_alu instid0(VALU_DEP_4)
	v_fma_f16 v166, 0x3b9c, v86, v80
	v_fmac_f16_e64 v74, 0xbb9c, v178
	v_fma_f16 v3, 0xbb9c, v168, v24
	v_fmac_f16_e64 v24, 0x3b9c, v168
	v_fmac_f16_e64 v4, 0xb8b4, v175
	;; [unrolled: 1-line block ×4, first 2 shown]
	v_fmac_f16_e32 v3, 0x38b4, v86
	v_fmac_f16_e32 v24, 0xb8b4, v86
	;; [unrolled: 1-line block ×3, first 2 shown]
	v_fmac_f16_e64 v166, 0x34f2, v0
	v_fmac_f16_e32 v74, 0x34f2, v2
	v_fmac_f16_e32 v3, 0x34f2, v1
	;; [unrolled: 1-line block ×4, first 2 shown]
	v_pack_b32_f16 v166, v166, v173
	v_and_b32_e32 v173, 0xffff, v222
	v_fmac_f16_e64 v80, 0xb8b4, v168
	v_pack_b32_f16 v5, v24, v74
	v_pack_b32_f16 v1, v3, v4
	s_delay_alu instid0(VALU_DEP_4) | instskip(NEXT) | instid1(VALU_DEP_4)
	v_lshlrev_b32_e32 v173, 2, v173
	v_fmac_f16_e32 v80, 0x34f2, v0
	v_pack_b32_f16 v0, v71, v79
	s_delay_alu instid0(VALU_DEP_3) | instskip(SKIP_1) | instid1(VALU_DEP_4)
	v_add_nc_u32_e32 v183, 0x2a00, v173
	v_add_nc_u32_e32 v182, 0x2600, v173
	v_pack_b32_f16 v2, v80, v169
	ds_store_2addr_b32 v183, v1, v5 offset0:62 offset1:187
	v_pack_b32_f16 v1, v76, v84
	ds_store_2addr_b32 v182, v73, v166 offset0:68 offset1:193
	ds_store_b32 v165, v0 offset:7000
	ds_store_b32 v172, v1 offset:9500
	ds_store_b32 v173, v2 offset:12000
	v_lshlrev_b32_e32 v0, 4, v6
	global_wb scope:SCOPE_SE
	s_wait_dscnt 0x0
	s_barrier_signal -1
	s_barrier_wait -1
	global_inv scope:SCOPE_SE
	ds_load_2addr_b32 v[66:67], v141 offset0:98 offset1:223
	s_clause 0x1
	global_load_b128 v[81:84], v7, s[6:7] offset:2480
	global_load_b128 v[24:27], v0, s[6:7] offset:2480
	ds_load_2addr_b32 v[77:78], v143 offset0:116 offset1:241
	ds_load_2addr_b32 v[79:80], v142 offset0:86 offset1:211
	s_wait_dscnt 0x2
	v_lshrrev_b32_e32 v1, 16, v66
	v_lshrrev_b32_e32 v2, 16, v67
	s_wait_dscnt 0x0
	v_lshrrev_b32_e32 v7, 16, v80
	s_wait_loadcnt 0x1
	v_lshrrev_b32_e32 v164, 16, v82
	s_wait_loadcnt 0x0
	v_lshrrev_b32_e32 v175, 16, v25
	v_lshrrev_b32_e32 v178, 16, v27
	;; [unrolled: 1-line block ×4, first 2 shown]
	v_mul_f16_e64 v0, v1, v164
	v_mul_f16_e64 v3, v2, v175
	;; [unrolled: 1-line block ×3, first 2 shown]
	v_lshrrev_b32_e32 v169, 16, v83
	v_mul_f16_e64 v6, v78, v168
	v_fma_f16 v0, v66, v82, -v0
	v_fma_f16 v73, v67, v25, -v3
	v_mul_f16_e64 v3, v66, v164
	ds_load_2addr_b32 v[66:67], v139 offset0:68 offset1:193
	v_fmac_f16_e32 v74, v2, v25
	v_mul_f16_e64 v68, v80, v169
	v_fmac_f16_e32 v3, v1, v82
	s_delay_alu instid0(VALU_DEP_2) | instskip(SKIP_1) | instid1(VALU_DEP_1)
	v_fmac_f16_e32 v68, v7, v83
	v_mul_f16_e64 v7, v7, v169
	v_fma_f16 v7, v80, v83, -v7
	s_delay_alu instid0(VALU_DEP_3) | instskip(NEXT) | instid1(VALU_DEP_2)
	v_sub_f16_e32 v80, v3, v68
	v_add_f16_e32 v70, v0, v7
	s_wait_dscnt 0x0
	v_lshrrev_b32_e32 v4, 16, v67
	v_lshrrev_b32_e32 v1, 16, v66
	v_mul_f16_e64 v2, v66, v166
	v_mul_f16_e64 v75, v67, v178
	s_delay_alu instid0(VALU_DEP_4) | instskip(NEXT) | instid1(VALU_DEP_3)
	v_mul_f16_e64 v5, v4, v178
	v_fmac_f16_e32 v2, v1, v84
	v_mul_f16_e64 v1, v1, v166
	s_delay_alu instid0(VALU_DEP_4) | instskip(NEXT) | instid1(VALU_DEP_4)
	v_fmac_f16_e32 v75, v4, v27
	v_fma_f16 v222, v67, v27, -v5
	v_lshrrev_b32_e32 v5, 16, v78
	s_delay_alu instid0(VALU_DEP_4) | instskip(NEXT) | instid1(VALU_DEP_2)
	v_fma_f16 v1, v66, v84, -v1
	v_fmac_f16_e32 v6, v5, v81
	v_mul_f16_e64 v5, v5, v168
	s_delay_alu instid0(VALU_DEP_3) | instskip(SKIP_1) | instid1(VALU_DEP_4)
	v_sub_f16_e32 v67, v1, v7
	v_sub_f16_e32 v86, v7, v1
	;; [unrolled: 1-line block ×3, first 2 shown]
	s_delay_alu instid0(VALU_DEP_4) | instskip(NEXT) | instid1(VALU_DEP_1)
	v_fma_f16 v5, v78, v81, -v5
	v_sub_f16_e32 v66, v5, v0
	v_add_f16_e32 v78, v5, v1
	s_delay_alu instid0(VALU_DEP_2)
	v_add_f16_e32 v69, v66, v67
	ds_load_2addr_b32 v[66:67], v87 offset1:125
	s_wait_dscnt 0x0
	v_add_f16_e32 v4, v66, v5
	v_fma_f16 v70, -0.5, v70, v66
	v_fma_f16 v78, -0.5, v78, v66
	s_delay_alu instid0(VALU_DEP_3) | instskip(NEXT) | instid1(VALU_DEP_3)
	v_add_f16_e32 v4, v4, v0
	v_fmamk_f16 v76, v71, 0x3b9c, v70
	v_fmac_f16_e32 v70, 0xbb9c, v71
	s_delay_alu instid0(VALU_DEP_4)
	v_fmamk_f16 v85, v80, 0xbb9c, v78
	v_fmac_f16_e32 v78, 0x3b9c, v80
	v_add_f16_e32 v4, v4, v7
	v_fmac_f16_e32 v76, 0x38b4, v80
	v_fmac_f16_e32 v70, 0xb8b4, v80
	v_sub_f16_e32 v80, v0, v5
	v_sub_f16_e32 v0, v0, v7
	v_add_f16_e32 v4, v4, v1
	v_sub_f16_e32 v1, v5, v1
	v_sub_f16_e32 v5, v6, v3
	;; [unrolled: 1-line block ×3, first 2 shown]
	v_fmac_f16_e32 v85, 0x38b4, v71
	v_fmac_f16_e32 v78, 0xb8b4, v71
	;; [unrolled: 1-line block ×4, first 2 shown]
	v_add_f16_e32 v5, v5, v7
	v_lshrrev_b32_e32 v7, 16, v66
	v_add_f16_e32 v66, v3, v68
	v_add_f16_e32 v69, v6, v2
	v_add_f16_e32 v80, v80, v86
	s_delay_alu instid0(VALU_DEP_4) | instskip(NEXT) | instid1(VALU_DEP_4)
	v_add_f16_e32 v71, v7, v6
	v_fma_f16 v66, -0.5, v66, v7
	s_delay_alu instid0(VALU_DEP_4) | instskip(NEXT) | instid1(VALU_DEP_4)
	v_fmac_f16_e32 v7, -0.5, v69
	v_fmac_f16_e32 v85, 0x34f2, v80
	v_fmac_f16_e32 v78, 0x34f2, v80
	v_add_f16_e32 v69, v71, v3
	v_sub_f16_e32 v3, v3, v6
	v_lshrrev_b32_e32 v80, 16, v24
	s_delay_alu instid0(VALU_DEP_3) | instskip(SKIP_3) | instid1(VALU_DEP_3)
	v_add_f16_e32 v6, v69, v68
	v_sub_f16_e32 v68, v68, v2
	v_fmamk_f16 v69, v1, 0xbb9c, v66
	v_fmac_f16_e32 v66, 0x3b9c, v1
	v_add_f16_e32 v3, v3, v68
	v_fmamk_f16 v68, v0, 0x3b9c, v7
	v_fmac_f16_e32 v7, 0xbb9c, v0
	v_fmac_f16_e32 v69, 0xb8b4, v0
	;; [unrolled: 1-line block ×3, first 2 shown]
	v_add_f16_e32 v0, v6, v2
	v_fmac_f16_e32 v68, 0xb8b4, v1
	v_fmac_f16_e32 v7, 0x38b4, v1
	;; [unrolled: 1-line block ×4, first 2 shown]
	v_pack_b32_f16 v0, v4, v0
	v_fmac_f16_e32 v68, 0x34f2, v3
	v_fmac_f16_e32 v7, 0x34f2, v3
	v_pack_b32_f16 v1, v76, v69
	v_pack_b32_f16 v5, v70, v66
	v_lshrrev_b32_e32 v6, 16, v67
	v_pack_b32_f16 v2, v85, v68
	v_pack_b32_f16 v3, v78, v7
	ds_store_b32 v87, v1 offset:2500
	ds_store_b32 v87, v2 offset:5000
	;; [unrolled: 1-line block ×4, first 2 shown]
	ds_load_2addr_b32 v[223:224], v129 offset0:110 offset1:235
	ds_load_2addr_b32 v[238:239], v122 offset0:80 offset1:205
	v_lshrrev_b32_e32 v78, 16, v26
	s_wait_dscnt 0x1
	v_lshrrev_b32_e32 v1, 16, v223
	v_mul_f16_e64 v2, v223, v80
	s_wait_dscnt 0x0
	v_lshrrev_b32_e32 v3, 16, v238
	v_mul_f16_e64 v4, v238, v78
	v_lshrrev_b32_e32 v240, 16, v224
	v_fmac_f16_e32 v2, v1, v24
	v_mul_f16_e32 v1, v1, v80
	s_delay_alu instid0(VALU_DEP_4) | instskip(SKIP_1) | instid1(VALU_DEP_4)
	v_fmac_f16_e32 v4, v3, v26
	v_mul_f16_e32 v3, v3, v78
	v_add_f16_e32 v7, v6, v2
	s_delay_alu instid0(VALU_DEP_4) | instskip(NEXT) | instid1(VALU_DEP_4)
	v_fma_f16 v1, v223, v24, -v1
	v_sub_f16_e32 v86, v74, v4
	s_delay_alu instid0(VALU_DEP_4)
	v_fma_f16 v3, v238, v26, -v3
	v_sub_f16_e32 v68, v4, v75
	v_add_f16_e32 v7, v7, v74
	v_add_f16_e32 v5, v67, v1
	v_sub_f16_e64 v232, v2, v75
	v_sub_f16_e64 v66, v3, v222
	;; [unrolled: 1-line block ×3, first 2 shown]
	v_add_f16_e32 v7, v7, v4
	v_add_f16_e32 v5, v5, v73
	v_sub_f16_e64 v238, v1, v222
	s_delay_alu instid0(VALU_DEP_3) | instskip(NEXT) | instid1(VALU_DEP_3)
	v_add_f16_e32 v7, v7, v75
	v_add_f16_e32 v5, v5, v3
	s_delay_alu instid0(VALU_DEP_1) | instskip(NEXT) | instid1(VALU_DEP_1)
	v_add_f16_e64 v5, v5, v222
	v_pack_b32_f16 v5, v5, v7
	ds_load_b32 v7, v87 offset:12000
	ds_load_2addr_b32 v[245:246], v117 offset0:122 offset1:247
	ds_load_2addr_b32 v[247:248], v124 offset0:92 offset1:217
	;; [unrolled: 1-line block ×5, first 2 shown]
	ds_store_2addr_b32 v87, v0, v5 offset1:125
	v_add_f16_e32 v0, v73, v3
	v_add_f16_e64 v5, v1, v222
	v_sub_f16_e64 v3, v222, v3
	s_delay_alu instid0(VALU_DEP_3) | instskip(NEXT) | instid1(VALU_DEP_3)
	v_fma_f16 v0, -0.5, v0, v67
	v_fmac_f16_e32 v67, -0.5, v5
	v_sub_f16_e32 v5, v73, v1
	v_sub_f16_e32 v1, v1, v73
	s_delay_alu instid0(VALU_DEP_3) | instskip(NEXT) | instid1(VALU_DEP_3)
	v_fma_f16 v230, 0xbb9c, v86, v67
	v_add_f16_e32 v5, v5, v66
	v_add_f16_e32 v66, v74, v4
	v_fmac_f16_e32 v67, 0x3b9c, v86
	v_sub_f16_e32 v4, v75, v4
	v_add_f16_e32 v1, v1, v3
	s_wait_dscnt 0x4
	v_lshrrev_b32_e32 v3, 16, v247
	v_fma_f16 v76, -0.5, v66, v6
	v_add_f16_e32 v66, v2, v75
	v_fmac_f16_e64 v67, 0xb8b4, v232
	s_wait_dscnt 0x3
	v_lshrrev_b32_e32 v73, 16, v249
	v_lshrrev_b32_e32 v144, 16, v245
	v_fmac_f16_e64 v230, 0x38b4, v232
	v_fmac_f16_e32 v6, -0.5, v66
	v_sub_f16_e32 v66, v74, v2
	v_fmac_f16_e32 v67, 0x34f2, v5
	v_sub_f16_e32 v2, v2, v74
	v_fmac_f16_e64 v230, 0x34f2, v5
	v_fma_f16 v236, 0x3b9c, v234, v6
	v_fmac_f16_e64 v6, 0xbb9c, v234
	v_add_f16_e32 v85, v66, v68
	v_add_f16_e32 v2, v2, v4
	s_delay_alu instid0(VALU_DEP_4) | instskip(NEXT) | instid1(VALU_DEP_4)
	v_fmac_f16_e64 v236, 0xb8b4, v238
	v_fmac_f16_e64 v6, 0x38b4, v238
	s_delay_alu instid0(VALU_DEP_2) | instskip(NEXT) | instid1(VALU_DEP_2)
	v_fmac_f16_e64 v236, 0x34f2, v85
	v_fmac_f16_e32 v6, 0x34f2, v85
	s_delay_alu instid0(VALU_DEP_1)
	v_pack_b32_f16 v6, v67, v6
	s_clause 0x1
	global_load_b128 v[68:71], v65, s[6:7] offset:2480
	global_load_b128 v[64:67], v64, s[6:7] offset:2480
	s_wait_loadcnt 0x1
	v_lshrrev_b32_e32 v227, 16, v68
	v_lshrrev_b32_e32 v222, 16, v71
	s_delay_alu instid0(VALU_DEP_2) | instskip(SKIP_1) | instid1(VALU_DEP_3)
	v_mul_f16_e64 v223, v240, v227
	v_mul_f16_e64 v110, v224, v227
	;; [unrolled: 1-line block ×3, first 2 shown]
	s_delay_alu instid0(VALU_DEP_3) | instskip(SKIP_2) | instid1(VALU_DEP_4)
	v_fma_f16 v94, v224, v68, -v223
	v_lshrrev_b32_e32 v224, 16, v239
	v_lshrrev_b32_e32 v223, 16, v70
	v_fmac_f16_e32 v74, v73, v71
	v_mul_f16_e64 v73, v73, v222
	v_fmac_f16_e64 v110, v240, v68
	s_delay_alu instid0(VALU_DEP_4) | instskip(NEXT) | instid1(VALU_DEP_3)
	v_mul_f16_e64 v255, v224, v223
	v_fma_f16 v73, v249, v71, -v73
	v_fma_f16 v249, 0xbb9c, v238, v76
	s_delay_alu instid0(VALU_DEP_4) | instskip(NEXT) | instid1(VALU_DEP_4)
	v_sub_f16_e32 v114, v110, v74
	v_fma_f16 v255, v239, v70, -v255
	v_mul_f16_e64 v239, v239, v223
	v_sub_f16_e64 v145, v94, v73
	v_fmac_f16_e64 v249, 0xb8b4, v234
	v_fmac_f16_e64 v76, 0x3b9c, v238
	v_sub_f16_e64 v240, v73, v255
	v_fmac_f16_e64 v239, v224, v70
	v_lshrrev_b32_e32 v224, 16, v69
	v_fmac_f16_e64 v249, 0x34f2, v2
	v_sub_f16_e64 v85, v255, v73
	v_fmac_f16_e64 v76, 0x38b4, v234
	s_wait_loadcnt 0x0
	v_lshrrev_b32_e32 v234, 16, v64
	v_mul_f16_e64 v4, v247, v224
	s_delay_alu instid0(VALU_DEP_3) | instskip(SKIP_1) | instid1(VALU_DEP_3)
	v_fmac_f16_e32 v76, 0x34f2, v2
	v_lshrrev_b32_e32 v2, 16, v248
	v_fmac_f16_e32 v4, v3, v69
	v_mul_f16_e64 v3, v3, v224
	s_delay_alu instid0(VALU_DEP_2) | instskip(NEXT) | instid1(VALU_DEP_2)
	v_add_f16_e64 v123, v4, v239
	v_fma_f16 v3, v247, v69, -v3
	v_sub_f16_e64 v247, v74, v239
	v_sub_f16_e64 v136, v4, v239
	s_delay_alu instid0(VALU_DEP_4) | instskip(NEXT) | instid1(VALU_DEP_4)
	v_fma_f16 v123, -0.5, v123, v144
	v_sub_f16_e32 v75, v94, v3
	v_sub_f16_e64 v188, v3, v255
	v_sub_f16_e32 v5, v3, v94
	s_delay_alu instid0(VALU_DEP_4) | instskip(NEXT) | instid1(VALU_DEP_4)
	v_fma_f16 v146, 0xbb9c, v145, v123
	v_add_f16_e64 v75, v75, v240
	v_sub_f16_e64 v240, v110, v4
	v_fmac_f16_e64 v123, 0x3b9c, v145
	v_add_f16_e32 v5, v5, v85
	v_fmac_f16_e64 v146, 0xb8b4, v188
	v_add_f16_e32 v85, v110, v74
	v_add_f16_e64 v240, v240, v247
	v_fma_f16 v247, 0x3b9c, v232, v0
	v_fmac_f16_e64 v0, 0xbb9c, v232
	v_fmac_f16_e64 v123, 0x38b4, v188
	v_lshrrev_b32_e32 v232, 16, v66
	v_fmac_f16_e64 v146, 0x34f2, v240
	v_fmac_f16_e64 v247, 0x38b4, v86
	v_fmac_f16_e32 v0, 0xb8b4, v86
	v_fmac_f16_e64 v123, 0x34f2, v240
	s_delay_alu instid0(VALU_DEP_3) | instskip(NEXT) | instid1(VALU_DEP_3)
	v_fmac_f16_e64 v247, 0x34f2, v1
	v_fmac_f16_e32 v0, 0x34f2, v1
	s_delay_alu instid0(VALU_DEP_2) | instskip(SKIP_1) | instid1(VALU_DEP_3)
	v_pack_b32_f16 v247, v247, v249
	v_add_f16_e64 v249, v3, v255
	v_pack_b32_f16 v0, v0, v76
	s_delay_alu instid0(VALU_DEP_2) | instskip(NEXT) | instid1(VALU_DEP_1)
	v_fma_f16 v249, -0.5, v249, v245
	v_fma_f16 v133, 0x3b9c, v114, v249
	v_fmac_f16_e64 v249, 0xbb9c, v114
	s_delay_alu instid0(VALU_DEP_2) | instskip(NEXT) | instid1(VALU_DEP_2)
	v_fmac_f16_e64 v133, 0x38b4, v136
	v_fmac_f16_e64 v249, 0xb8b4, v136
	s_delay_alu instid0(VALU_DEP_2) | instskip(NEXT) | instid1(VALU_DEP_2)
	v_fmac_f16_e64 v133, 0x34f2, v75
	v_fmac_f16_e64 v249, 0x34f2, v75
	s_delay_alu instid0(VALU_DEP_2) | instskip(SKIP_1) | instid1(VALU_DEP_3)
	v_pack_b32_f16 v133, v133, v146
	v_add_f16_e64 v146, v94, v73
	v_pack_b32_f16 v1, v249, v123
	ds_store_2addr_b32 v129, v247, v133 offset0:110 offset1:235
	v_add_f16_e64 v133, v144, v110
	v_fmac_f16_e64 v144, -0.5, v85
	v_sub_f16_e32 v85, v4, v110
	v_sub_f16_e64 v110, v239, v74
	v_fma_f16 v146, -0.5, v146, v245
	ds_store_2addr_b32 v130, v0, v1 offset0:65 offset1:190
	v_add_f16_e64 v0, v245, v94
	v_add_f16_e64 v1, v133, v4
	v_add_f16_e32 v85, v85, v110
	v_pack_b32_f16 v110, v230, v236
	v_fma_f16 v230, 0xbb9c, v136, v146
	v_fma_f16 v236, 0x3b9c, v188, v144
	v_fmac_f16_e64 v146, 0x3b9c, v136
	v_fmac_f16_e64 v144, 0xbb9c, v188
	v_add_f16_e32 v0, v0, v3
	v_fmac_f16_e64 v230, 0x38b4, v114
	v_fmac_f16_e64 v236, 0xb8b4, v145
	;; [unrolled: 1-line block ×4, first 2 shown]
	v_add_f16_e64 v0, v0, v255
	v_fmac_f16_e64 v230, 0x34f2, v5
	v_fmac_f16_e64 v236, 0x34f2, v85
	v_add_f16_e64 v1, v1, v239
	v_fmac_f16_e64 v146, 0x34f2, v5
	v_fmac_f16_e64 v144, 0x34f2, v85
	v_add_f16_e32 v0, v0, v73
	v_pack_b32_f16 v230, v230, v236
	v_lshrrev_b32_e32 v236, 16, v65
	v_add_f16_e32 v1, v1, v74
	v_pack_b32_f16 v5, v146, v144
	s_wait_dscnt 0x3
	v_mul_f16_e64 v85, v253, v232
	ds_store_2addr_b32 v147, v110, v230 offset0:95 offset1:220
	v_mul_f16_e64 v4, v248, v236
	v_mul_f16_e64 v3, v2, v236
	v_lshrrev_b32_e32 v230, 16, v67
	v_pack_b32_f16 v0, v0, v1
	v_lshrrev_b32_e32 v1, 16, v251
	v_fmac_f16_e32 v4, v2, v65
	v_mul_f16_e64 v2, v251, v234
	ds_store_2addr_b32 v122, v6, v5 offset0:80 offset1:205
	v_lshrrev_b32_e32 v5, 16, v250
	v_mul_f16_e64 v76, v250, v230
	v_lshrrev_b32_e32 v74, 16, v246
	v_fmac_f16_e32 v2, v1, v64
	v_mul_f16_e64 v1, v1, v234
	v_mul_f16_e64 v6, v5, v230
	v_fmac_f16_e32 v76, v5, v67
	v_lshrrev_b32_e32 v5, 16, v253
	v_fma_f16 v3, v248, v65, -v3
	v_fma_f16 v1, v251, v64, -v1
	v_add_f16_e32 v75, v74, v2
	v_fma_f16 v6, v250, v67, -v6
	v_fmac_f16_e32 v85, v5, v66
	v_mul_f16_e64 v5, v5, v232
	v_add_f16_e64 v73, v246, v1
	v_add_f16_e32 v75, v75, v4
	v_sub_f16_e64 v133, v2, v76
	v_sub_f16_e32 v114, v4, v85
	v_fma_f16 v5, v253, v66, -v5
	v_add_f16_e32 v73, v73, v3
	v_add_f16_e32 v75, v75, v85
	v_sub_f16_e64 v145, v1, v6
	v_lshrrev_b32_e32 v188, 16, v252
	v_sub_f16_e64 v136, v3, v5
	v_add_f16_e32 v73, v73, v5
	v_add_f16_e32 v75, v75, v76
	v_lshrrev_b32_e32 v247, 16, v79
	s_delay_alu instid0(VALU_DEP_3) | instskip(NEXT) | instid1(VALU_DEP_1)
	v_add_f16_e32 v73, v73, v6
	v_pack_b32_f16 v73, v73, v75
	v_sub_f16_e32 v75, v5, v6
	ds_store_2addr_b32 v117, v0, v73 offset0:122 offset1:247
	v_add_f16_e32 v0, v3, v5
	v_add_f16_e32 v73, v1, v6
	s_delay_alu instid0(VALU_DEP_2) | instskip(NEXT) | instid1(VALU_DEP_2)
	v_fma_f16 v0, -0.5, v0, v246
	v_fmac_f16_e64 v246, -0.5, v73
	v_sub_f16_e32 v73, v3, v1
	v_sub_f16_e32 v1, v1, v3
	;; [unrolled: 1-line block ×3, first 2 shown]
	v_lshrrev_b32_e32 v5, 16, v7
	v_fma_f16 v123, 0xbb9c, v114, v246
	v_add_f16_e32 v86, v73, v75
	v_add_f16_e32 v73, v4, v85
	v_sub_f16_e32 v75, v85, v76
	v_fmac_f16_e64 v246, 0x3b9c, v114
	v_add_f16_e32 v1, v1, v3
	v_fmac_f16_e64 v123, 0x38b4, v133
	v_fma_f16 v94, -0.5, v73, v74
	v_add_f16_e32 v73, v2, v76
	v_fmac_f16_e64 v246, 0xb8b4, v133
	s_delay_alu instid0(VALU_DEP_4) | instskip(NEXT) | instid1(VALU_DEP_3)
	v_fmac_f16_e32 v123, 0x34f2, v86
	v_fmac_f16_e32 v74, -0.5, v73
	v_sub_f16_e32 v73, v4, v2
	s_delay_alu instid0(VALU_DEP_4)
	v_fmac_f16_e64 v246, 0x34f2, v86
	v_sub_f16_e32 v2, v2, v4
	v_sub_f16_e32 v4, v76, v85
	v_fma_f16 v144, 0x3b9c, v136, v74
	v_fmac_f16_e64 v74, 0xbb9c, v136
	v_add_f16_e32 v110, v73, v75
	v_fma_f16 v76, 0xbb9c, v145, v94
	v_add_f16_e32 v2, v2, v4
	v_fmac_f16_e64 v94, 0x3b9c, v145
	v_fmac_f16_e64 v74, 0x38b4, v145
	;; [unrolled: 1-line block ×4, first 2 shown]
	s_delay_alu instid0(VALU_DEP_4) | instskip(NEXT) | instid1(VALU_DEP_4)
	v_fmac_f16_e64 v94, 0x38b4, v136
	v_fmac_f16_e32 v74, 0x34f2, v110
	s_delay_alu instid0(VALU_DEP_4) | instskip(NEXT) | instid1(VALU_DEP_4)
	v_fmac_f16_e64 v144, 0x34f2, v110
	v_fmac_f16_e32 v76, 0x34f2, v2
	s_delay_alu instid0(VALU_DEP_4) | instskip(NEXT) | instid1(VALU_DEP_4)
	v_fmac_f16_e32 v94, 0x34f2, v2
	v_pack_b32_f16 v146, v246, v74
	global_load_b128 v[72:75], v72, s[6:7] offset:2480
	s_wait_loadcnt 0x0
	v_lshrrev_b32_e32 v240, 16, v72
	s_delay_alu instid0(VALU_DEP_1) | instskip(SKIP_1) | instid1(VALU_DEP_2)
	v_mul_f16_e64 v238, v188, v240
	v_mul_f16_e64 v246, v252, v240
	v_fma_f16 v245, v252, v72, -v238
	v_lshrrev_b32_e32 v238, 16, v73
	s_delay_alu instid0(VALU_DEP_3) | instskip(SKIP_1) | instid1(VALU_DEP_3)
	v_fmac_f16_e64 v246, v188, v72
	v_lshrrev_b32_e32 v252, 16, v77
	v_mul_f16_e64 v239, v247, v238
	v_mul_f16_e64 v249, v79, v238
	s_delay_alu instid0(VALU_DEP_2) | instskip(SKIP_2) | instid1(VALU_DEP_4)
	v_fma_f16 v248, v79, v73, -v239
	v_lshrrev_b32_e32 v239, 16, v74
	v_lshrrev_b32_e32 v79, 16, v254
	v_fmac_f16_e64 v249, v247, v73
	s_delay_alu instid0(VALU_DEP_4) | instskip(NEXT) | instid1(VALU_DEP_4)
	v_sub_f16_e64 v3, v245, v248
	v_mul_f16_e64 v251, v254, v239
	s_delay_alu instid0(VALU_DEP_4) | instskip(NEXT) | instid1(VALU_DEP_2)
	v_mul_f16_e64 v250, v79, v239
	v_fmac_f16_e64 v251, v79, v74
	v_lshrrev_b32_e32 v79, 16, v75
	s_delay_alu instid0(VALU_DEP_3) | instskip(NEXT) | instid1(VALU_DEP_3)
	v_fma_f16 v250, v254, v74, -v250
	v_add_f16_e64 v253, v249, v251
	s_delay_alu instid0(VALU_DEP_3) | instskip(SKIP_1) | instid1(VALU_DEP_4)
	v_mul_f16_e32 v6, v5, v79
	v_sub_f16_e64 v247, v249, v251
	v_sub_f16_e64 v102, v248, v250
	s_delay_alu instid0(VALU_DEP_4) | instskip(NEXT) | instid1(VALU_DEP_4)
	v_fma_f16 v253, -0.5, v253, v252
	v_fma_f16 v6, v7, v75, -v6
	v_mul_f16_e32 v7, v7, v79
	s_delay_alu instid0(VALU_DEP_2) | instskip(NEXT) | instid1(VALU_DEP_2)
	v_sub_f16_e64 v4, v6, v250
	v_fmac_f16_e32 v7, v5, v75
	v_sub_f16_e64 v254, v245, v6
	s_delay_alu instid0(VALU_DEP_3) | instskip(SKIP_1) | instid1(VALU_DEP_4)
	v_add_f16_e32 v3, v3, v4
	v_sub_f16_e64 v4, v246, v249
	v_sub_f16_e64 v5, v7, v251
	;; [unrolled: 1-line block ×3, first 2 shown]
	v_fma_f16 v255, 0xbb9c, v254, v253
	v_fmac_f16_e64 v253, 0x3b9c, v254
	s_delay_alu instid0(VALU_DEP_4) | instskip(SKIP_1) | instid1(VALU_DEP_4)
	v_add_f16_e32 v4, v4, v5
	v_fma_f16 v5, 0x3b9c, v133, v0
	v_fmac_f16_e64 v255, 0xb8b4, v102
	v_fmac_f16_e64 v0, 0xbb9c, v133
	;; [unrolled: 1-line block ×3, first 2 shown]
	s_delay_alu instid0(VALU_DEP_4) | instskip(NEXT) | instid1(VALU_DEP_4)
	v_fmac_f16_e32 v5, 0x38b4, v114
	v_fmac_f16_e64 v255, 0x34f2, v4
	s_delay_alu instid0(VALU_DEP_4) | instskip(NEXT) | instid1(VALU_DEP_4)
	v_fmac_f16_e32 v0, 0xb8b4, v114
	v_fmac_f16_e64 v253, 0x34f2, v4
	s_delay_alu instid0(VALU_DEP_4) | instskip(NEXT) | instid1(VALU_DEP_3)
	v_fmac_f16_e32 v5, 0x34f2, v1
	v_fmac_f16_e32 v0, 0x34f2, v1
	s_delay_alu instid0(VALU_DEP_2) | instskip(SKIP_1) | instid1(VALU_DEP_3)
	v_pack_b32_f16 v5, v5, v76
	v_add_f16_e64 v76, v248, v250
	v_pack_b32_f16 v0, v0, v94
	s_delay_alu instid0(VALU_DEP_2) | instskip(NEXT) | instid1(VALU_DEP_1)
	v_fma_f16 v76, -0.5, v76, v77
	v_fma_f16 v188, 0x3b9c, v85, v76
	v_fmac_f16_e32 v76, 0xbb9c, v85
	s_delay_alu instid0(VALU_DEP_2) | instskip(NEXT) | instid1(VALU_DEP_2)
	v_fmac_f16_e64 v188, 0x38b4, v247
	v_fmac_f16_e64 v76, 0xb8b4, v247
	s_delay_alu instid0(VALU_DEP_2) | instskip(NEXT) | instid1(VALU_DEP_2)
	v_fmac_f16_e64 v188, 0x34f2, v3
	v_fmac_f16_e32 v76, 0x34f2, v3
	s_delay_alu instid0(VALU_DEP_2) | instskip(SKIP_1) | instid1(VALU_DEP_3)
	v_pack_b32_f16 v188, v188, v255
	v_add_f16_e64 v255, v252, v246
	v_pack_b32_f16 v1, v76, v253
	ds_store_2addr_b32 v101, v5, v188 offset0:104 offset1:229
	v_add_f16_e64 v5, v245, v6
	v_add_f16_e64 v188, v77, v245
	s_delay_alu instid0(VALU_DEP_2) | instskip(SKIP_2) | instid1(VALU_DEP_1)
	v_fmac_f16_e32 v77, -0.5, v5
	v_sub_f16_e64 v5, v248, v245
	v_sub_f16_e64 v245, v250, v6
	v_add_f16_e64 v5, v5, v245
	v_add_f16_e64 v245, v246, v7
	s_delay_alu instid0(VALU_DEP_1) | instskip(SKIP_2) | instid1(VALU_DEP_3)
	v_fmac_f16_e64 v252, -0.5, v245
	v_sub_f16_e64 v245, v249, v246
	v_sub_f16_e64 v246, v251, v7
	v_fma_f16 v106, 0x3b9c, v102, v252
	v_fmac_f16_e64 v252, 0xbb9c, v102
	s_delay_alu instid0(VALU_DEP_3) | instskip(SKIP_4) | instid1(VALU_DEP_4)
	v_add_f16_e64 v245, v245, v246
	v_fma_f16 v246, 0xbb9c, v247, v77
	v_fmac_f16_e64 v77, 0x3b9c, v247
	v_fmac_f16_e64 v106, 0xb8b4, v254
	;; [unrolled: 1-line block ×4, first 2 shown]
	s_delay_alu instid0(VALU_DEP_4) | instskip(NEXT) | instid1(VALU_DEP_4)
	v_fmac_f16_e32 v77, 0xb8b4, v85
	v_fmac_f16_e64 v106, 0x34f2, v245
	s_delay_alu instid0(VALU_DEP_4) | instskip(NEXT) | instid1(VALU_DEP_4)
	v_fmac_f16_e64 v252, 0x34f2, v245
	v_fmac_f16_e64 v246, 0x34f2, v5
	s_delay_alu instid0(VALU_DEP_4) | instskip(SKIP_1) | instid1(VALU_DEP_3)
	v_fmac_f16_e32 v77, 0x34f2, v5
	v_pack_b32_f16 v5, v123, v144
	v_pack_b32_f16 v86, v246, v106
	s_delay_alu instid0(VALU_DEP_3)
	v_pack_b32_f16 v77, v77, v252
	ds_store_2addr_b32 v134, v5, v86 offset0:89 offset1:214
	ds_store_2addr_b32 v96, v146, v77 offset0:74 offset1:199
	;; [unrolled: 1-line block ×3, first 2 shown]
	v_add_f16_e64 v0, v188, v248
	v_add_f16_e64 v1, v255, v249
	s_delay_alu instid0(VALU_DEP_2) | instskip(NEXT) | instid1(VALU_DEP_2)
	v_add_f16_e64 v0, v0, v250
	v_add_f16_e64 v1, v1, v251
	s_delay_alu instid0(VALU_DEP_2) | instskip(NEXT) | instid1(VALU_DEP_2)
	v_add_f16_e32 v0, v0, v6
	v_add_f16_e32 v1, v1, v7
	s_delay_alu instid0(VALU_DEP_1)
	v_pack_b32_f16 v0, v0, v1
	ds_store_b32 v87, v0 offset:2000
	global_wb scope:SCOPE_SE
	s_wait_dscnt 0x0
	s_barrier_signal -1
	s_barrier_wait -1
	global_inv scope:SCOPE_SE
	s_clause 0x1
	global_load_b32 v0, v87, s[4:5] offset:12500
	global_load_b32 v1, v87, s[2:3] offset:12000
	ds_load_2addr_b32 v[245:246], v87 offset1:125
	s_wait_dscnt 0x0
	v_lshrrev_b32_e32 v3, 16, v245
	s_wait_loadcnt 0x1
	v_lshrrev_b32_e32 v2, 16, v0
	s_delay_alu instid0(VALU_DEP_1) | instskip(NEXT) | instid1(VALU_DEP_3)
	v_mul_f16_e64 v4, v245, v2
	v_mul_f16_e32 v2, v3, v2
	s_delay_alu instid0(VALU_DEP_2) | instskip(NEXT) | instid1(VALU_DEP_2)
	v_fmac_f16_e32 v4, v3, v0
	v_fma_f16 v0, v245, v0, -v2
	s_delay_alu instid0(VALU_DEP_1)
	v_pack_b32_f16 v0, v0, v4
	ds_store_b32 v87, v0
	s_clause 0x3
	global_load_b32 v0, v87, s[2:3] offset:2500
	global_load_b32 v2, v87, s[2:3] offset:3000
	global_load_b32 v3, v87, s[2:3] offset:3500
	global_load_b32 v4, v87, s[2:3] offset:2000
	ds_load_2addr_b32 v[247:248], v143 offset0:116 offset1:241
	s_wait_dscnt 0x0
	v_lshrrev_b32_e32 v6, 16, v248
	s_wait_loadcnt 0x3
	v_lshrrev_b32_e32 v5, 16, v0
	s_delay_alu instid0(VALU_DEP_1) | instskip(NEXT) | instid1(VALU_DEP_3)
	v_mul_f16_e64 v7, v248, v5
	v_mul_f16_e32 v5, v6, v5
	s_delay_alu instid0(VALU_DEP_2) | instskip(NEXT) | instid1(VALU_DEP_2)
	v_fmac_f16_e32 v7, v6, v0
	v_fma_f16 v0, v248, v0, -v5
	ds_load_2addr_b32 v[248:249], v129 offset0:110 offset1:235
	s_wait_loadcnt 0x2
	v_lshrrev_b32_e32 v5, 16, v2
	v_pack_b32_f16 v0, v0, v7
	s_wait_dscnt 0x0
	v_lshrrev_b32_e32 v6, 16, v248
	s_delay_alu instid0(VALU_DEP_3) | instskip(NEXT) | instid1(VALU_DEP_2)
	v_mul_f16_e64 v76, v248, v5
	v_mul_f16_e32 v5, v6, v5
	s_delay_alu instid0(VALU_DEP_2) | instskip(NEXT) | instid1(VALU_DEP_2)
	v_fmac_f16_e32 v76, v6, v2
	v_fma_f16 v2, v248, v2, -v5
	v_add_nc_u32_e32 v5, 0x800, v87
	s_delay_alu instid0(VALU_DEP_2)
	v_pack_b32_f16 v2, v2, v76
	ds_store_2addr_b32 v5, v0, v2 offset0:113 offset1:238
	s_clause 0x1
	global_load_b32 v0, v87, s[2:3] offset:7500
	global_load_b32 v2, v87, s[2:3] offset:7000
	ds_load_2addr_b32 v[250:251], v142 offset0:86 offset1:211
	s_wait_dscnt 0x0
	v_lshrrev_b32_e32 v6, 16, v251
	s_wait_loadcnt 0x1
	v_lshrrev_b32_e32 v5, 16, v0
	s_delay_alu instid0(VALU_DEP_1) | instskip(NEXT) | instid1(VALU_DEP_3)
	v_mul_f16_e64 v7, v251, v5
	v_mul_f16_e32 v5, v6, v5
	s_delay_alu instid0(VALU_DEP_2) | instskip(NEXT) | instid1(VALU_DEP_2)
	v_fmac_f16_e32 v7, v6, v0
	v_fma_f16 v0, v251, v0, -v5
	s_clause 0x7
	global_load_b32 v5, v87, s[2:3] offset:8000
	global_load_b32 v6, v87, s[2:3] offset:8500
	;; [unrolled: 1-line block ×8, first 2 shown]
	ds_load_2addr_b32 v[251:252], v122 offset0:80 offset1:205
	v_pack_b32_f16 v0, v0, v7
	v_add_nc_u32_e32 v7, 0x1c00, v87
	s_wait_dscnt 0x0
	v_lshrrev_b32_e32 v110, 16, v251
	s_wait_loadcnt 0x7
	v_lshrrev_b32_e32 v106, 16, v5
	s_delay_alu instid0(VALU_DEP_1) | instskip(NEXT) | instid1(VALU_DEP_3)
	v_mul_f16_e64 v114, v251, v106
	v_mul_f16_e32 v106, v110, v106
	s_delay_alu instid0(VALU_DEP_2) | instskip(NEXT) | instid1(VALU_DEP_2)
	v_fmac_f16_e32 v114, v110, v5
	v_fma_f16 v5, v251, v5, -v106
	s_delay_alu instid0(VALU_DEP_1) | instskip(SKIP_3) | instid1(VALU_DEP_1)
	v_pack_b32_f16 v5, v5, v114
	ds_store_2addr_b32 v7, v0, v5 offset0:83 offset1:208
	v_lshrrev_b32_e32 v0, 16, v249
	v_lshrrev_b32_e32 v5, 16, v3
	v_mul_f16_e32 v7, v0, v5
	v_mul_f16_e64 v5, v249, v5
	s_delay_alu instid0(VALU_DEP_2) | instskip(NEXT) | instid1(VALU_DEP_2)
	v_fma_f16 v7, v249, v3, -v7
	v_fmac_f16_e32 v5, v0, v3
	s_clause 0x5
	global_load_b32 v0, v87, s[2:3] offset:4000
	global_load_b32 v3, v87, s[2:3] offset:4500
	;; [unrolled: 1-line block ×6, first 2 shown]
	ds_load_2addr_b32 v[248:249], v101 offset0:104 offset1:229
	v_pack_b32_f16 v5, v7, v5
	v_add_nc_u32_e32 v7, 0xc00, v87
	s_wait_dscnt 0x0
	v_lshrrev_b32_e32 v136, 16, v248
	s_wait_loadcnt 0x5
	v_lshrrev_b32_e32 v133, 16, v0
	s_delay_alu instid0(VALU_DEP_1) | instskip(NEXT) | instid1(VALU_DEP_3)
	v_mul_f16_e64 v144, v248, v133
	v_mul_f16_e64 v133, v136, v133
	s_delay_alu instid0(VALU_DEP_2) | instskip(NEXT) | instid1(VALU_DEP_2)
	v_fmac_f16_e64 v144, v136, v0
	v_fma_f16 v0, v248, v0, -v133
	s_delay_alu instid0(VALU_DEP_1) | instskip(SKIP_3) | instid1(VALU_DEP_1)
	v_pack_b32_f16 v0, v0, v144
	ds_store_2addr_b32 v7, v5, v0 offset0:107 offset1:232
	v_lshrrev_b32_e32 v0, 16, v252
	v_lshrrev_b32_e32 v5, 16, v6
	v_mul_f16_e32 v7, v0, v5
	v_mul_f16_e64 v5, v252, v5
	s_delay_alu instid0(VALU_DEP_2) | instskip(SKIP_3) | instid1(VALU_DEP_2)
	v_fma_f16 v7, v252, v6, -v7
	ds_load_2addr_b32 v[251:252], v96 offset0:74 offset1:199
	v_fmac_f16_e32 v5, v0, v6
	v_lshrrev_b32_e32 v0, 16, v76
	v_pack_b32_f16 v5, v7, v5
	s_wait_dscnt 0x0
	v_lshrrev_b32_e32 v6, 16, v251
	s_delay_alu instid0(VALU_DEP_3) | instskip(NEXT) | instid1(VALU_DEP_2)
	v_mul_f16_e64 v133, v251, v0
	v_mul_f16_e32 v0, v6, v0
	s_delay_alu instid0(VALU_DEP_2) | instskip(SKIP_1) | instid1(VALU_DEP_3)
	v_fmac_f16_e64 v133, v6, v76
	v_add_nc_u32_e32 v6, 0x2000, v87
	v_fma_f16 v0, v251, v76, -v0
	s_delay_alu instid0(VALU_DEP_1) | instskip(SKIP_4) | instid1(VALU_DEP_1)
	v_pack_b32_f16 v0, v0, v133
	ds_store_2addr_b32 v6, v5, v0 offset0:77 offset1:202
	global_load_b32 v0, v87, s[2:3] offset:1500
	v_lshrrev_b32_e32 v5, 16, v247
	v_lshrrev_b32_e32 v6, 16, v4
	v_mul_f16_e32 v7, v5, v6
	v_mul_f16_e64 v6, v247, v6
	s_delay_alu instid0(VALU_DEP_2)
	v_fma_f16 v7, v247, v4, -v7
	ds_load_2addr_b32 v[247:248], v117 offset0:122 offset1:247
	v_fmac_f16_e32 v6, v5, v4
	global_load_b32 v4, v87, s[2:3] offset:1000
	s_wait_dscnt 0x0
	v_lshrrev_b32_e32 v76, 16, v248
	s_wait_loadcnt 0x1
	v_lshrrev_b32_e32 v5, 16, v0
	s_delay_alu instid0(VALU_DEP_1) | instskip(NEXT) | instid1(VALU_DEP_3)
	v_mul_f16_e64 v133, v248, v5
	v_mul_f16_e32 v5, v76, v5
	s_delay_alu instid0(VALU_DEP_2) | instskip(NEXT) | instid1(VALU_DEP_2)
	v_fmac_f16_e64 v133, v76, v0
	v_fma_f16 v0, v248, v0, -v5
	v_pack_b32_f16 v5, v7, v6
	v_add_nc_u32_e32 v6, 0x400, v87
	s_delay_alu instid0(VALU_DEP_3) | instskip(SKIP_3) | instid1(VALU_DEP_1)
	v_pack_b32_f16 v0, v0, v133
	ds_store_2addr_b32 v6, v0, v5 offset0:119 offset1:244
	v_lshrrev_b32_e32 v0, 16, v249
	v_lshrrev_b32_e32 v5, 16, v3
	v_mul_f16_e32 v6, v0, v5
	v_mul_f16_e64 v5, v249, v5
	s_delay_alu instid0(VALU_DEP_2)
	v_fma_f16 v6, v249, v3, -v6
	ds_load_2addr_b32 v[248:249], v141 offset0:98 offset1:223
	v_fmac_f16_e32 v5, v0, v3
	v_lshrrev_b32_e32 v0, 16, v106
	s_wait_dscnt 0x0
	v_lshrrev_b32_e32 v3, 16, v248
	s_delay_alu instid0(VALU_DEP_2) | instskip(NEXT) | instid1(VALU_DEP_2)
	v_mul_f16_e64 v7, v248, v0
	v_mul_f16_e32 v0, v3, v0
	s_delay_alu instid0(VALU_DEP_2) | instskip(SKIP_2) | instid1(VALU_DEP_4)
	v_fmac_f16_e32 v7, v3, v106
	v_pack_b32_f16 v3, v6, v5
	v_add_nc_u32_e32 v5, 0x1000, v87
	v_fma_f16 v0, v248, v106, -v0
	s_delay_alu instid0(VALU_DEP_1) | instskip(SKIP_3) | instid1(VALU_DEP_1)
	v_pack_b32_f16 v0, v0, v7
	ds_store_2addr_b32 v5, v3, v0 offset0:101 offset1:226
	v_lshrrev_b32_e32 v0, 16, v252
	v_lshrrev_b32_e32 v3, 16, v77
	v_mul_f16_e32 v5, v0, v3
	v_mul_f16_e64 v3, v252, v3
	s_delay_alu instid0(VALU_DEP_2) | instskip(SKIP_3) | instid1(VALU_DEP_2)
	v_fma_f16 v5, v252, v77, -v5
	ds_load_2addr_b32 v[251:252], v139 offset0:68 offset1:193
	v_fmac_f16_e32 v3, v0, v77
	v_lshrrev_b32_e32 v0, 16, v85
	v_pack_b32_f16 v3, v5, v3
	v_add_nc_u32_e32 v5, 0x2400, v87
	s_wait_dscnt 0x0
	v_lshrrev_b32_e32 v6, 16, v251
	v_mul_f16_e64 v7, v251, v0
	s_delay_alu instid0(VALU_DEP_2) | instskip(NEXT) | instid1(VALU_DEP_2)
	v_mul_f16_e32 v0, v6, v0
	v_fmac_f16_e32 v7, v6, v85
	s_delay_alu instid0(VALU_DEP_2) | instskip(NEXT) | instid1(VALU_DEP_1)
	v_fma_f16 v0, v251, v85, -v0
	v_pack_b32_f16 v0, v0, v7
	ds_store_2addr_b32 v5, v3, v0 offset0:71 offset1:196
	global_load_b32 v0, v87, s[2:3] offset:500
	ds_load_b32 v5, v87 offset:12000
	v_lshrrev_b32_e32 v3, 16, v246
	s_wait_loadcnt 0x1
	v_lshrrev_b32_e32 v77, 16, v4
	s_wait_loadcnt 0x0
	v_lshrrev_b32_e32 v6, 16, v0
	s_delay_alu instid0(VALU_DEP_1) | instskip(SKIP_1) | instid1(VALU_DEP_2)
	v_mul_f16_e32 v7, v3, v6
	v_mul_f16_e64 v6, v246, v6
	v_fma_f16 v7, v246, v0, -v7
	s_delay_alu instid0(VALU_DEP_2)
	v_fmac_f16_e32 v6, v3, v0
	v_lshrrev_b32_e32 v0, 16, v249
	v_lshrrev_b32_e32 v3, 16, v110
	ds_load_2addr_b32 v[245:246], v124 offset0:92 offset1:217
	v_mul_f16_e32 v76, v0, v3
	v_mul_f16_e64 v3, v249, v3
	s_delay_alu instid0(VALU_DEP_2) | instskip(NEXT) | instid1(VALU_DEP_2)
	v_fma_f16 v76, v249, v110, -v76
	v_fmac_f16_e32 v3, v0, v110
	v_lshrrev_b32_e32 v0, 16, v247
	s_delay_alu instid0(VALU_DEP_2) | instskip(NEXT) | instid1(VALU_DEP_2)
	v_pack_b32_f16 v3, v76, v3
	v_mul_f16_e32 v85, v0, v77
	v_mul_f16_e64 v77, v247, v77
	v_lshrrev_b32_e32 v76, 16, v2
	s_delay_alu instid0(VALU_DEP_3) | instskip(NEXT) | instid1(VALU_DEP_3)
	v_fma_f16 v85, v247, v4, -v85
	v_fmac_f16_e32 v77, v0, v4
	v_lshrrev_b32_e32 v0, 16, v252
	v_lshrrev_b32_e32 v4, 16, v86
	ds_load_2addr_b32 v[247:248], v118 offset0:62 offset1:187
	v_mul_f16_e32 v106, v0, v4
	v_mul_f16_e64 v4, v252, v4
	s_delay_alu instid0(VALU_DEP_2) | instskip(NEXT) | instid1(VALU_DEP_2)
	v_fma_f16 v106, v252, v86, -v106
	v_fmac_f16_e32 v4, v0, v86
	v_pack_b32_f16 v0, v7, v6
	v_pack_b32_f16 v6, v85, v77
	ds_store_2addr_b32 v87, v0, v6 offset0:125 offset1:250
	v_lshrrev_b32_e32 v0, 16, v114
	s_wait_dscnt 0x2
	v_lshrrev_b32_e32 v6, 16, v245
	s_delay_alu instid0(VALU_DEP_2) | instskip(NEXT) | instid1(VALU_DEP_2)
	v_mul_f16_e64 v7, v245, v0
	v_mul_f16_e32 v0, v6, v0
	s_delay_alu instid0(VALU_DEP_2) | instskip(NEXT) | instid1(VALU_DEP_2)
	v_fmac_f16_e32 v7, v6, v114
	v_fma_f16 v0, v245, v114, -v0
	s_delay_alu instid0(VALU_DEP_1) | instskip(SKIP_4) | instid1(VALU_DEP_2)
	v_pack_b32_f16 v0, v0, v7
	ds_store_2addr_b32 v147, v3, v0 offset0:95 offset1:220
	v_lshrrev_b32_e32 v0, 16, v94
	s_wait_dscnt 0x2
	v_lshrrev_b32_e32 v3, 16, v247
	v_mul_f16_e64 v6, v247, v0
	s_delay_alu instid0(VALU_DEP_2) | instskip(NEXT) | instid1(VALU_DEP_2)
	v_mul_f16_e32 v0, v3, v0
	v_fmac_f16_e32 v6, v3, v94
	s_delay_alu instid0(VALU_DEP_2) | instskip(SKIP_1) | instid1(VALU_DEP_2)
	v_fma_f16 v0, v247, v94, -v0
	v_pack_b32_f16 v3, v106, v4
	v_pack_b32_f16 v0, v0, v6
	v_lshrrev_b32_e32 v6, 16, v102
	ds_store_2addr_b32 v130, v3, v0 offset0:65 offset1:190
	v_lshrrev_b32_e32 v0, 16, v246
	v_lshrrev_b32_e32 v3, 16, v123
	s_delay_alu instid0(VALU_DEP_1) | instskip(SKIP_1) | instid1(VALU_DEP_2)
	v_mul_f16_e32 v4, v0, v3
	v_mul_f16_e64 v3, v246, v3
	v_fma_f16 v4, v246, v123, -v4
	s_delay_alu instid0(VALU_DEP_2) | instskip(SKIP_1) | instid1(VALU_DEP_1)
	v_fmac_f16_e32 v3, v0, v123
	v_lshrrev_b32_e32 v0, 16, v248
	v_mul_f16_e32 v7, v0, v6
	v_mul_f16_e64 v6, v248, v6
	s_delay_alu instid0(VALU_DEP_2) | instskip(NEXT) | instid1(VALU_DEP_2)
	v_fma_f16 v7, v248, v102, -v7
	v_fmac_f16_e32 v6, v0, v102
	v_lshrrev_b32_e32 v0, 16, v250
	s_delay_alu instid0(VALU_DEP_1) | instskip(SKIP_1) | instid1(VALU_DEP_2)
	v_mul_f16_e32 v77, v0, v76
	v_mul_f16_e64 v76, v250, v76
	v_fma_f16 v77, v250, v2, -v77
	s_delay_alu instid0(VALU_DEP_2) | instskip(SKIP_2) | instid1(VALU_DEP_1)
	v_fmac_f16_e32 v76, v0, v2
	v_lshrrev_b32_e32 v0, 16, v5
	v_lshrrev_b32_e32 v2, 16, v1
	v_mul_f16_e32 v85, v0, v2
	v_mul_f16_e32 v2, v5, v2
	s_delay_alu instid0(VALU_DEP_2) | instskip(NEXT) | instid1(VALU_DEP_2)
	v_fma_f16 v5, v5, v1, -v85
	v_fmac_f16_e32 v2, v0, v1
	v_pack_b32_f16 v0, v4, v3
	v_pack_b32_f16 v1, v77, v76
	ds_store_2addr_b32 v134, v0, v1 offset0:89 offset1:214
	v_pack_b32_f16 v0, v7, v6
	v_pack_b32_f16 v1, v5, v2
	ds_store_2addr_b32 v127, v0, v1 offset0:59 offset1:184
	global_wb scope:SCOPE_SE
	s_wait_dscnt 0x0
	s_barrier_signal -1
	s_barrier_wait -1
	global_inv scope:SCOPE_SE
	ds_load_2addr_b32 v[245:246], v141 offset0:98 offset1:223
	ds_load_2addr_b32 v[247:248], v143 offset0:116 offset1:241
	;; [unrolled: 1-line block ×4, first 2 shown]
	ds_load_2addr_b32 v[253:254], v87 offset1:125
	s_wait_dscnt 0x3
	v_pk_add_f16 v0, v248, v245 neg_lo:[0,1] neg_hi:[0,1]
	s_wait_dscnt 0x1
	v_pk_add_f16 v1, v249, v252 neg_lo:[0,1] neg_hi:[0,1]
	v_pk_add_f16 v4, v245, v252 neg_lo:[0,1] neg_hi:[0,1]
	s_delay_alu instid0(VALU_DEP_2) | instskip(SKIP_2) | instid1(VALU_DEP_4)
	v_pk_add_f16 v6, v0, v1
	v_pk_add_f16 v0, v245, v252
	v_pk_add_f16 v1, v248, v249 neg_lo:[0,1] neg_hi:[0,1]
	v_pk_mul_f16 v5, 0x3b9c, v4 op_sel_hi:[0,1]
	v_pk_mul_f16 v4, 0x38b4, v4 op_sel_hi:[0,1]
	s_wait_dscnt 0x0
	v_pk_fma_f16 v0, v0, 0.5, v253 op_sel_hi:[1,0,1] neg_lo:[1,0,0] neg_hi:[1,0,0]
	v_pk_mul_f16 v2, 0x3b9c, v1 op_sel_hi:[0,1]
	v_pk_mul_f16 v1, 0x38b4, v1 op_sel_hi:[0,1]
	s_delay_alu instid0(VALU_DEP_2) | instskip(SKIP_2) | instid1(VALU_DEP_3)
	v_pk_add_f16 v3, v0, v2 op_sel:[0,1] op_sel_hi:[1,0] neg_lo:[0,1] neg_hi:[0,1]
	v_pk_add_f16 v0, v0, v2 op_sel:[0,1] op_sel_hi:[1,0]
	v_pk_add_f16 v2, v248, v249
	v_pk_add_f16 v94, v3, v4 op_sel:[0,1] op_sel_hi:[1,0] neg_lo:[0,1] neg_hi:[0,1]
	s_delay_alu instid0(VALU_DEP_3) | instskip(NEXT) | instid1(VALU_DEP_3)
	v_pk_add_f16 v102, v0, v4 op_sel:[0,1] op_sel_hi:[1,0]
	v_pk_fma_f16 v2, v2, 0.5, v253 op_sel_hi:[1,0,1] neg_lo:[1,0,0] neg_hi:[1,0,0]
	v_pk_add_f16 v0, v253, v248
	s_delay_alu instid0(VALU_DEP_2) | instskip(SKIP_1) | instid1(VALU_DEP_3)
	v_pk_add_f16 v7, v2, v5 op_sel:[0,1] op_sel_hi:[1,0]
	v_pk_add_f16 v2, v2, v5 op_sel:[0,1] op_sel_hi:[1,0] neg_lo:[0,1] neg_hi:[0,1]
	v_pk_add_f16 v0, v0, v245
	s_delay_alu instid0(VALU_DEP_3) | instskip(NEXT) | instid1(VALU_DEP_3)
	v_pk_add_f16 v5, v7, v1 op_sel:[0,1] op_sel_hi:[1,0] neg_lo:[0,1] neg_hi:[0,1]
	v_pk_add_f16 v1, v2, v1 op_sel:[0,1] op_sel_hi:[1,0]
	v_pk_add_f16 v2, v245, v248 neg_lo:[0,1] neg_hi:[0,1]
	v_pk_add_f16 v7, v252, v249 neg_lo:[0,1] neg_hi:[0,1]
	v_pk_add_f16 v0, v0, v252
	s_delay_alu instid0(VALU_DEP_2) | instskip(SKIP_2) | instid1(VALU_DEP_4)
	v_pk_add_f16 v2, v2, v7
	v_bfi_b32 v7, 0xffff, v5, v1
	v_bfi_b32 v1, 0xffff, v1, v5
	v_pk_add_f16 v110, v0, v249
	v_bfi_b32 v0, 0xffff, v94, v102
	v_bfi_b32 v94, 0xffff, v102, v94
	v_pk_fma_f16 v7, 0x34f2, v2, v7 op_sel_hi:[0,1,1]
	v_pk_fma_f16 v106, 0x34f2, v2, v1 op_sel_hi:[0,1,1]
	s_delay_alu instid0(VALU_DEP_4)
	v_pk_fma_f16 v114, 0x34f2, v6, v0 op_sel_hi:[0,1,1]
	ds_load_b32 v123, v87 offset:12000
	ds_load_2addr_b32 v[248:249], v129 offset0:110 offset1:235
	ds_load_2addr_b32 v[252:253], v122 offset0:80 offset1:205
	;; [unrolled: 1-line block ×7, first 2 shown]
	v_pk_fma_f16 v6, 0x34f2, v6, v94 op_sel_hi:[0,1,1]
	global_wb scope:SCOPE_SE
	s_wait_dscnt 0x0
	s_barrier_signal -1
	s_barrier_wait -1
	global_inv scope:SCOPE_SE
	ds_store_2addr_b32 v151, v110, v114 offset1:1
	ds_store_2addr_b32 v151, v7, v106 offset0:2 offset1:3
	ds_store_b32 v151, v6 offset:16
	v_pk_add_f16 v102, v248, v250 neg_lo:[0,1] neg_hi:[0,1]
	v_pk_add_f16 v6, v246, v252
	v_pk_add_f16 v7, v248, v250
	;; [unrolled: 1-line block ×3, first 2 shown]
	v_pk_add_f16 v133, v246, v248 neg_lo:[0,1] neg_hi:[0,1]
	v_pk_mul_f16 v106, 0x3b9c, v102 op_sel_hi:[0,1]
	v_pk_fma_f16 v6, v6, 0.5, v254 op_sel_hi:[1,0,1] neg_lo:[1,0,0] neg_hi:[1,0,0]
	v_pk_fma_f16 v7, v7, 0.5, v254 op_sel_hi:[1,0,1] neg_lo:[1,0,0] neg_hi:[1,0,0]
	v_pk_mul_f16 v102, 0x38b4, v102 op_sel_hi:[0,1]
	v_pk_add_f16 v94, v94, v246
	v_pk_add_f16 v114, v248, v246 neg_lo:[0,1] neg_hi:[0,1]
	v_pk_add_f16 v110, v6, v106 op_sel:[0,1] op_sel_hi:[1,0] neg_lo:[0,1] neg_hi:[0,1]
	v_pk_add_f16 v6, v6, v106 op_sel:[0,1] op_sel_hi:[1,0]
	v_pk_add_f16 v106, v246, v252 neg_lo:[0,1] neg_hi:[0,1]
	v_pk_add_f16 v94, v94, v252
	s_delay_alu instid0(VALU_DEP_2) | instskip(SKIP_1) | instid1(VALU_DEP_3)
	v_pk_mul_f16 v136, 0x3b9c, v106 op_sel_hi:[0,1]
	v_pk_mul_f16 v106, 0x38b4, v106 op_sel_hi:[0,1]
	v_pk_add_f16 v94, v94, v250
	s_delay_alu instid0(VALU_DEP_3) | instskip(SKIP_1) | instid1(VALU_DEP_4)
	v_pk_add_f16 v144, v7, v136 op_sel:[0,1] op_sel_hi:[1,0]
	v_pk_add_f16 v7, v7, v136 op_sel:[0,1] op_sel_hi:[1,0] neg_lo:[0,1] neg_hi:[0,1]
	v_pk_add_f16 v110, v110, v106 op_sel:[0,1] op_sel_hi:[1,0] neg_lo:[0,1] neg_hi:[0,1]
	v_pk_add_f16 v6, v6, v106 op_sel:[0,1] op_sel_hi:[1,0]
	s_delay_alu instid0(VALU_DEP_4) | instskip(NEXT) | instid1(VALU_DEP_4)
	v_pk_add_f16 v136, v144, v102 op_sel:[0,1] op_sel_hi:[1,0] neg_lo:[0,1] neg_hi:[0,1]
	v_pk_add_f16 v7, v7, v102 op_sel:[0,1] op_sel_hi:[1,0]
	v_pk_add_f16 v102, v252, v250 neg_lo:[0,1] neg_hi:[0,1]
	v_pk_add_f16 v144, v250, v252 neg_lo:[0,1] neg_hi:[0,1]
	s_delay_alu instid0(VALU_DEP_2) | instskip(NEXT) | instid1(VALU_DEP_4)
	v_pk_add_f16 v102, v133, v102
	v_bfi_b32 v133, 0xffff, v136, v7
	v_bfi_b32 v7, 0xffff, v7, v136
	s_delay_alu instid0(VALU_DEP_4) | instskip(NEXT) | instid1(VALU_DEP_3)
	v_pk_add_f16 v106, v114, v144
	v_pk_fma_f16 v114, 0x34f2, v102, v133 op_sel_hi:[0,1,1]
	s_delay_alu instid0(VALU_DEP_3) | instskip(SKIP_3) | instid1(VALU_DEP_3)
	v_pk_fma_f16 v7, 0x34f2, v102, v7 op_sel_hi:[0,1,1]
	v_bfi_b32 v102, 0xffff, v110, v6
	v_bfi_b32 v6, 0xffff, v6, v110
	v_pk_add_f16 v110, v85, v249
	v_pk_fma_f16 v102, 0x34f2, v106, v102 op_sel_hi:[0,1,1]
	s_delay_alu instid0(VALU_DEP_3)
	v_pk_fma_f16 v6, 0x34f2, v106, v6 op_sel_hi:[0,1,1]
	v_pk_add_f16 v106, v249, v76 neg_lo:[0,1] neg_hi:[0,1]
	ds_store_2addr_b32 v149, v94, v102 offset1:1
	ds_store_2addr_b32 v149, v114, v7 offset0:2 offset1:3
	ds_store_b32 v149, v6 offset:16
	v_pk_add_f16 v6, v76, v253
	v_pk_add_f16 v7, v249, v0 neg_lo:[0,1] neg_hi:[0,1]
	v_pk_add_f16 v114, v76, v249 neg_lo:[0,1] neg_hi:[0,1]
	s_delay_alu instid0(VALU_DEP_3) | instskip(NEXT) | instid1(VALU_DEP_3)
	v_pk_fma_f16 v6, v6, 0.5, v85 op_sel_hi:[1,0,1] neg_lo:[1,0,0] neg_hi:[1,0,0]
	v_pk_mul_f16 v94, 0x3b9c, v7 op_sel_hi:[0,1]
	v_pk_mul_f16 v7, 0x38b4, v7 op_sel_hi:[0,1]
	s_delay_alu instid0(VALU_DEP_2) | instskip(SKIP_2) | instid1(VALU_DEP_1)
	v_pk_add_f16 v102, v6, v94 op_sel:[0,1] op_sel_hi:[1,0] neg_lo:[0,1] neg_hi:[0,1]
	v_pk_add_f16 v6, v6, v94 op_sel:[0,1] op_sel_hi:[1,0]
	v_pk_add_f16 v94, v249, v0
	v_pk_fma_f16 v85, v94, 0.5, v85 op_sel_hi:[1,0,1] neg_lo:[1,0,0] neg_hi:[1,0,0]
	v_pk_add_f16 v94, v76, v253 neg_lo:[0,1] neg_hi:[0,1]
	v_pk_add_f16 v76, v110, v76
	v_pk_add_f16 v110, v0, v253 neg_lo:[0,1] neg_hi:[0,1]
	s_delay_alu instid0(VALU_DEP_3) | instskip(SKIP_1) | instid1(VALU_DEP_4)
	v_pk_mul_f16 v133, 0x3b9c, v94 op_sel_hi:[0,1]
	v_pk_mul_f16 v94, 0x38b4, v94 op_sel_hi:[0,1]
	v_pk_add_f16 v76, v76, v253
	s_delay_alu instid0(VALU_DEP_3) | instskip(SKIP_1) | instid1(VALU_DEP_4)
	v_pk_add_f16 v136, v85, v133 op_sel:[0,1] op_sel_hi:[1,0]
	v_pk_add_f16 v85, v85, v133 op_sel:[0,1] op_sel_hi:[1,0] neg_lo:[0,1] neg_hi:[0,1]
	v_pk_add_f16 v102, v102, v94 op_sel:[0,1] op_sel_hi:[1,0] neg_lo:[0,1] neg_hi:[0,1]
	v_pk_add_f16 v6, v6, v94 op_sel:[0,1] op_sel_hi:[1,0]
	v_pk_add_f16 v94, v106, v110
	v_pk_add_f16 v133, v136, v7 op_sel:[0,1] op_sel_hi:[1,0] neg_lo:[0,1] neg_hi:[0,1]
	v_pk_add_f16 v7, v85, v7 op_sel:[0,1] op_sel_hi:[1,0]
	v_pk_add_f16 v85, v253, v0 neg_lo:[0,1] neg_hi:[0,1]
	v_pk_add_f16 v0, v76, v0
	v_bfi_b32 v76, 0xffff, v102, v6
	s_delay_alu instid0(VALU_DEP_3) | instskip(SKIP_1) | instid1(VALU_DEP_3)
	v_pk_add_f16 v85, v114, v85
	v_bfi_b32 v114, 0xffff, v133, v7
	v_pk_fma_f16 v76, 0x34f2, v94, v76 op_sel_hi:[0,1,1]
	v_bfi_b32 v7, 0xffff, v7, v133
	s_delay_alu instid0(VALU_DEP_3)
	v_pk_fma_f16 v106, 0x34f2, v85, v114 op_sel_hi:[0,1,1]
	ds_store_2addr_b32 v153, v0, v76 offset1:1
	v_bfi_b32 v0, 0xffff, v6, v102
	v_pk_fma_f16 v7, 0x34f2, v85, v7 op_sel_hi:[0,1,1]
	v_pk_add_f16 v76, v2, v1 neg_lo:[0,1] neg_hi:[0,1]
	v_pk_add_f16 v6, v2, v1
	s_delay_alu instid0(VALU_DEP_4)
	v_pk_fma_f16 v0, 0x34f2, v94, v0 op_sel_hi:[0,1,1]
	ds_store_2addr_b32 v153, v106, v7 offset0:2 offset1:3
	ds_store_b32 v153, v0 offset:16
	v_pk_add_f16 v0, v77, v4
	v_pk_mul_f16 v85, 0x3b9c, v76 op_sel_hi:[0,1]
	v_pk_fma_f16 v6, v6, 0.5, v86 op_sel_hi:[1,0,1] neg_lo:[1,0,0] neg_hi:[1,0,0]
	v_pk_add_f16 v7, v86, v2
	v_pk_add_f16 v94, v2, v77 neg_lo:[0,1] neg_hi:[0,1]
	v_pk_fma_f16 v0, v0, 0.5, v86 op_sel_hi:[1,0,1] neg_lo:[1,0,0] neg_hi:[1,0,0]
	v_pk_add_f16 v2, v77, v2 neg_lo:[0,1] neg_hi:[0,1]
	v_pk_mul_f16 v76, 0x38b4, v76 op_sel_hi:[0,1]
	v_pk_add_f16 v7, v7, v77
	s_delay_alu instid0(VALU_DEP_4) | instskip(SKIP_2) | instid1(VALU_DEP_4)
	v_pk_add_f16 v86, v0, v85 op_sel:[0,1] op_sel_hi:[1,0] neg_lo:[0,1] neg_hi:[0,1]
	v_pk_add_f16 v0, v0, v85 op_sel:[0,1] op_sel_hi:[1,0]
	v_pk_add_f16 v85, v77, v4 neg_lo:[0,1] neg_hi:[0,1]
	v_pk_add_f16 v7, v7, v4
	s_delay_alu instid0(VALU_DEP_2) | instskip(NEXT) | instid1(VALU_DEP_2)
	v_pk_mul_f16 v77, 0x3b9c, v85 op_sel_hi:[0,1]
	v_pk_add_f16 v7, v7, v1
	s_delay_alu instid0(VALU_DEP_2) | instskip(SKIP_1) | instid1(VALU_DEP_2)
	v_pk_add_f16 v102, v6, v77 op_sel:[0,1] op_sel_hi:[1,0]
	v_pk_add_f16 v6, v6, v77 op_sel:[0,1] op_sel_hi:[1,0] neg_lo:[0,1] neg_hi:[0,1]
	v_pk_add_f16 v77, v102, v76 op_sel:[0,1] op_sel_hi:[1,0] neg_lo:[0,1] neg_hi:[0,1]
	s_delay_alu instid0(VALU_DEP_2) | instskip(SKIP_2) | instid1(VALU_DEP_3)
	v_pk_add_f16 v6, v6, v76 op_sel:[0,1] op_sel_hi:[1,0]
	v_pk_add_f16 v76, v4, v1 neg_lo:[0,1] neg_hi:[0,1]
	v_pk_add_f16 v1, v1, v4 neg_lo:[0,1] neg_hi:[0,1]
	v_bfi_b32 v4, 0xffff, v77, v6
	s_delay_alu instid0(VALU_DEP_3) | instskip(SKIP_3) | instid1(VALU_DEP_4)
	v_pk_add_f16 v2, v2, v76
	v_pk_mul_f16 v76, 0x38b4, v85 op_sel_hi:[0,1]
	v_bfi_b32 v6, 0xffff, v6, v77
	v_pk_add_f16 v1, v94, v1
	v_pk_fma_f16 v4, 0x34f2, v2, v4 op_sel_hi:[0,1,1]
	s_delay_alu instid0(VALU_DEP_4) | instskip(SKIP_2) | instid1(VALU_DEP_2)
	v_pk_add_f16 v77, v86, v76 op_sel:[0,1] op_sel_hi:[1,0] neg_lo:[0,1] neg_hi:[0,1]
	v_pk_add_f16 v0, v0, v76 op_sel:[0,1] op_sel_hi:[1,0]
	v_pk_fma_f16 v2, 0x34f2, v2, v6 op_sel_hi:[0,1,1]
	v_bfi_b32 v6, 0xffff, v77, v0
	v_bfi_b32 v0, 0xffff, v0, v77
	s_delay_alu instid0(VALU_DEP_2) | instskip(NEXT) | instid1(VALU_DEP_2)
	v_pk_fma_f16 v6, 0x34f2, v1, v6 op_sel_hi:[0,1,1]
	v_pk_fma_f16 v0, 0x34f2, v1, v0 op_sel_hi:[0,1,1]
	v_pk_add_f16 v1, v3, v123
	ds_store_2addr_b32 v150, v7, v6 offset1:1
	ds_store_2addr_b32 v150, v4, v2 offset0:2 offset1:3
	ds_store_b32 v150, v0 offset:16
	v_pk_add_f16 v0, v251, v5
	v_pk_add_f16 v4, v3, v123 neg_lo:[0,1] neg_hi:[0,1]
	v_pk_add_f16 v7, v251, v5 neg_lo:[0,1] neg_hi:[0,1]
	v_pk_fma_f16 v1, v1, 0.5, v247 op_sel_hi:[1,0,1] neg_lo:[1,0,0] neg_hi:[1,0,0]
	v_pk_add_f16 v2, v247, v3
	v_pk_fma_f16 v0, v0, 0.5, v247 op_sel_hi:[1,0,1] neg_lo:[1,0,0] neg_hi:[1,0,0]
	v_pk_mul_f16 v76, 0x3b9c, v4 op_sel_hi:[0,1]
	v_pk_mul_f16 v4, 0x38b4, v4 op_sel_hi:[0,1]
	v_pk_add_f16 v6, v3, v251 neg_lo:[0,1] neg_hi:[0,1]
	v_pk_add_f16 v3, v251, v3 neg_lo:[0,1] neg_hi:[0,1]
	v_pk_add_f16 v2, v2, v251
	v_pk_add_f16 v77, v0, v76 op_sel:[0,1] op_sel_hi:[1,0] neg_lo:[0,1] neg_hi:[0,1]
	v_pk_add_f16 v0, v0, v76 op_sel:[0,1] op_sel_hi:[1,0]
	v_pk_mul_f16 v76, 0x3b9c, v7 op_sel_hi:[0,1]
	v_pk_mul_f16 v7, 0x38b4, v7 op_sel_hi:[0,1]
	v_pk_add_f16 v2, v2, v5
	s_delay_alu instid0(VALU_DEP_3) | instskip(SKIP_1) | instid1(VALU_DEP_4)
	v_pk_add_f16 v85, v1, v76 op_sel:[0,1] op_sel_hi:[1,0]
	v_pk_add_f16 v1, v1, v76 op_sel:[0,1] op_sel_hi:[1,0] neg_lo:[0,1] neg_hi:[0,1]
	v_pk_add_f16 v0, v0, v7 op_sel:[0,1] op_sel_hi:[1,0]
	s_delay_alu instid0(VALU_DEP_4) | instskip(NEXT) | instid1(VALU_DEP_4)
	v_pk_add_f16 v2, v2, v123
	v_pk_add_f16 v76, v85, v4 op_sel:[0,1] op_sel_hi:[1,0] neg_lo:[0,1] neg_hi:[0,1]
	s_delay_alu instid0(VALU_DEP_4) | instskip(SKIP_2) | instid1(VALU_DEP_2)
	v_pk_add_f16 v1, v1, v4 op_sel:[0,1] op_sel_hi:[1,0]
	v_pk_add_f16 v4, v5, v123 neg_lo:[0,1] neg_hi:[0,1]
	v_pk_add_f16 v5, v123, v5 neg_lo:[0,1] neg_hi:[0,1]
	v_pk_add_f16 v3, v3, v4
	s_delay_alu instid0(VALU_DEP_4) | instskip(SKIP_3) | instid1(VALU_DEP_4)
	v_bfi_b32 v4, 0xffff, v76, v1
	v_bfi_b32 v1, 0xffff, v1, v76
	v_pk_add_f16 v76, v77, v7 op_sel:[0,1] op_sel_hi:[1,0] neg_lo:[0,1] neg_hi:[0,1]
	v_pk_add_f16 v5, v6, v5
	v_pk_fma_f16 v4, 0x34f2, v3, v4 op_sel_hi:[0,1,1]
	s_delay_alu instid0(VALU_DEP_4) | instskip(NEXT) | instid1(VALU_DEP_4)
	v_pk_fma_f16 v1, 0x34f2, v3, v1 op_sel_hi:[0,1,1]
	v_bfi_b32 v3, 0xffff, v76, v0
	v_bfi_b32 v0, 0xffff, v0, v76
	s_delay_alu instid0(VALU_DEP_2) | instskip(NEXT) | instid1(VALU_DEP_2)
	v_pk_fma_f16 v3, 0x34f2, v5, v3 op_sel_hi:[0,1,1]
	v_pk_fma_f16 v0, 0x34f2, v5, v0 op_sel_hi:[0,1,1]
	ds_store_2addr_b32 v148, v2, v3 offset1:1
	ds_store_2addr_b32 v148, v4, v1 offset0:2 offset1:3
	ds_store_b32 v148, v0 offset:16
	global_wb scope:SCOPE_SE
	s_wait_dscnt 0x0
	s_barrier_signal -1
	s_barrier_wait -1
	global_inv scope:SCOPE_SE
	ds_load_2addr_b32 v[0:1], v129 offset0:110 offset1:235
	s_wait_dscnt 0x0
	v_lshrrev_b32_e32 v2, 16, v0
	v_mul_f16_e64 v3, v181, v0
	s_delay_alu instid0(VALU_DEP_2) | instskip(NEXT) | instid1(VALU_DEP_2)
	v_mul_f16_e64 v246, v181, v2
	v_fma_f16 v245, v12, v2, -v3
	ds_load_2addr_b32 v[2:3], v141 offset0:98 offset1:223
	v_fmac_f16_e64 v246, v12, v0
	v_lshrrev_b32_e32 v0, 16, v1
	s_delay_alu instid0(VALU_DEP_1) | instskip(NEXT) | instid1(VALU_DEP_1)
	v_mul_f16_e64 v150, v186, v0
	v_fmac_f16_e64 v150, v20, v1
	v_mul_f16_e64 v1, v186, v1
	s_wait_dscnt 0x0
	v_lshrrev_b32_e32 v4, 16, v3
	v_mul_f16_e64 v5, v176, v3
	s_delay_alu instid0(VALU_DEP_3)
	v_fma_f16 v151, v20, v0, -v1
	ds_load_2addr_b32 v[0:1], v124 offset0:92 offset1:217
	v_mul_f16_e64 v248, v176, v4
	v_fma_f16 v247, v13, v4, -v5
	ds_load_2addr_b32 v[4:5], v122 offset0:80 offset1:205
	v_fmac_f16_e64 v248, v13, v3
	s_wait_dscnt 0x0
	v_lshrrev_b32_e32 v6, 16, v4
	v_mul_f16_e64 v7, v180, v4
	v_lshrrev_b32_e32 v3, 16, v5
	s_delay_alu instid0(VALU_DEP_3) | instskip(NEXT) | instid1(VALU_DEP_3)
	v_mul_f16_e64 v250, v180, v6
	v_fma_f16 v249, v14, v6, -v7
	ds_load_2addr_b32 v[6:7], v139 offset0:68 offset1:193
	v_mul_f16_e64 v153, v184, v3
	v_fmac_f16_e64 v250, v14, v4
	v_mul_f16_e64 v4, v184, v5
	s_delay_alu instid0(VALU_DEP_3) | instskip(SKIP_1) | instid1(VALU_DEP_3)
	v_fmac_f16_e64 v153, v22, v5
	v_lshrrev_b32_e32 v5, 16, v0
	v_fma_f16 v176, v22, v3, -v4
	ds_load_2addr_b32 v[3:4], v118 offset0:62 offset1:187
	v_mul_f16_e64 v180, v187, v5
	s_delay_alu instid0(VALU_DEP_1) | instskip(SKIP_3) | instid1(VALU_DEP_2)
	v_fmac_f16_e64 v180, v21, v0
	s_wait_dscnt 0x1
	v_lshrrev_b32_e32 v76, 16, v7
	v_mul_f16_e64 v77, v174, v7
	v_mul_f16_e64 v252, v174, v76
	s_delay_alu instid0(VALU_DEP_2) | instskip(NEXT) | instid1(VALU_DEP_2)
	v_fma_f16 v251, v15, v76, -v77
	v_fmac_f16_e64 v252, v15, v7
	v_mul_f16_e64 v7, v187, v0
	s_wait_dscnt 0x0
	v_mul_f16_e64 v12, v190, v4
	s_delay_alu instid0(VALU_DEP_2) | instskip(SKIP_2) | instid1(VALU_DEP_2)
	v_fma_f16 v174, v21, v5, -v7
	v_lshrrev_b32_e32 v5, 16, v3
	v_mul_f16_e64 v7, v185, v3
	v_mul_f16_e64 v184, v185, v5
	s_delay_alu instid0(VALU_DEP_2) | instskip(SKIP_2) | instid1(VALU_DEP_4)
	v_fma_f16 v181, v23, v5, -v7
	v_mul_f16_e64 v5, v192, v1
	v_lshrrev_b32_e32 v7, 16, v4
	v_fmac_f16_e64 v184, v23, v3
	v_lshrrev_b32_e32 v3, 16, v1
	s_delay_alu instid0(VALU_DEP_3) | instskip(NEXT) | instid1(VALU_DEP_2)
	v_mul_f16_e64 v21, v190, v7
	v_mul_f16_e64 v20, v192, v3
	v_fma_f16 v77, v17, v3, -v5
	s_delay_alu instid0(VALU_DEP_3) | instskip(SKIP_1) | instid1(VALU_DEP_4)
	v_fmac_f16_e32 v21, v19, v4
	v_fma_f16 v19, v19, v7, -v12
	v_fmac_f16_e32 v20, v17, v1
	ds_load_2addr_b32 v[0:1], v101 offset0:104 offset1:229
	s_wait_dscnt 0x0
	v_lshrrev_b32_e32 v4, 16, v0
	v_mul_f16_e64 v13, v194, v0
	s_delay_alu instid0(VALU_DEP_2) | instskip(NEXT) | instid1(VALU_DEP_2)
	v_mul_f16_e64 v23, v194, v4
	v_fma_f16 v22, v16, v4, -v13
	ds_load_2addr_b32 v[3:4], v96 offset0:74 offset1:199
	v_fmac_f16_e32 v23, v16, v0
	v_lshrrev_b32_e32 v0, 16, v1
	s_delay_alu instid0(VALU_DEP_1) | instskip(NEXT) | instid1(VALU_DEP_1)
	v_mul_f16_e64 v12, v201, v0
	v_fmac_f16_e32 v12, v8, v1
	v_mul_f16_e64 v1, v201, v1
	s_wait_dscnt 0x0
	v_lshrrev_b32_e32 v5, 16, v3
	s_delay_alu instid0(VALU_DEP_2) | instskip(SKIP_3) | instid1(VALU_DEP_2)
	v_fma_f16 v14, v8, v0, -v1
	ds_load_2addr_b32 v[0:1], v142 offset0:86 offset1:211
	v_mul_f16_e64 v13, v193, v3
	v_mul_f16_e64 v149, v193, v5
	v_fma_f16 v148, v18, v5, -v13
	s_delay_alu instid0(VALU_DEP_2) | instskip(SKIP_1) | instid1(VALU_DEP_1)
	v_fmac_f16_e64 v149, v18, v3
	v_lshrrev_b32_e32 v3, 16, v4
	v_mul_f16_e64 v13, v200, v3
	s_delay_alu instid0(VALU_DEP_1) | instskip(SKIP_4) | instid1(VALU_DEP_3)
	v_fmac_f16_e32 v13, v10, v4
	v_mul_f16_e64 v4, v200, v4
	s_wait_dscnt 0x0
	v_lshrrev_b32_e32 v5, 16, v0
	v_mul_f16_e64 v7, v198, v0
	v_fma_f16 v10, v10, v3, -v4
	ds_load_b32 v3, v87 offset:12000
	v_mul_f16_e64 v16, v198, v5
	v_fma_f16 v15, v9, v5, -v7
	v_lshrrev_b32_e32 v7, 16, v6
	s_delay_alu instid0(VALU_DEP_3) | instskip(SKIP_3) | instid1(VALU_DEP_1)
	v_fmac_f16_e32 v16, v9, v0
	ds_load_2addr_b32 v[8:9], v143 offset0:116 offset1:241
	v_lshrrev_b32_e32 v0, 16, v2
	v_mul_f16_e32 v18, v93, v7
	v_fmac_f16_e64 v18, v162, v6
	v_mul_f16_e32 v6, v93, v6
	s_wait_dscnt 0x1
	v_lshrrev_b32_e32 v4, 16, v3
	v_mul_f16_e64 v5, v199, v3
	s_delay_alu instid0(VALU_DEP_3) | instskip(NEXT) | instid1(VALU_DEP_3)
	v_fma_f16 v6, v162, v7, -v6
	v_mul_f16_e64 v17, v199, v4
	s_wait_dscnt 0x0
	v_lshrrev_b32_e32 v76, 16, v9
	v_mul_f16_e32 v85, v89, v9
	s_delay_alu instid0(VALU_DEP_3)
	v_fmac_f16_e32 v17, v11, v3
	v_lshrrev_b32_e32 v3, 16, v1
	v_fma_f16 v11, v11, v4, -v5
	v_mul_f16_e32 v4, v91, v0
	v_mul_f16_e32 v86, v89, v76
	v_fma_f16 v76, v159, v76, -v85
	v_mul_f16_e32 v5, v88, v3
	s_delay_alu instid0(VALU_DEP_4) | instskip(SKIP_2) | instid1(VALU_DEP_4)
	v_fmac_f16_e64 v4, v160, v2
	v_mul_f16_e32 v2, v91, v2
	v_fmac_f16_e64 v86, v159, v9
	v_fmac_f16_e64 v5, v161, v1
	v_mul_f16_e32 v1, v88, v1
	v_sub_f16_e32 v94, v76, v6
	v_fma_f16 v85, v160, v0, -v2
	v_sub_f16_e32 v0, v86, v4
	v_sub_f16_e32 v110, v86, v18
	v_fma_f16 v88, v161, v3, -v1
	v_sub_f16_e32 v1, v18, v5
	v_sub_f16_e32 v114, v4, v5
	s_delay_alu instid0(VALU_DEP_3) | instskip(NEXT) | instid1(VALU_DEP_3)
	v_sub_f16_e32 v102, v85, v88
	v_add_f16_e32 v7, v0, v1
	v_sub_f16_e32 v0, v76, v85
	v_sub_f16_e32 v1, v6, v88
	s_delay_alu instid0(VALU_DEP_1) | instskip(SKIP_4) | instid1(VALU_DEP_2)
	v_add_f16_e32 v9, v0, v1
	ds_load_2addr_b32 v[0:1], v87 offset1:125
	s_wait_dscnt 0x0
	v_lshrrev_b32_e32 v89, 16, v0
	v_add_f16_e32 v2, v0, v86
	v_add_f16_e32 v3, v89, v76
	s_delay_alu instid0(VALU_DEP_2) | instskip(NEXT) | instid1(VALU_DEP_2)
	v_add_f16_e32 v2, v2, v4
	v_add_f16_e32 v3, v3, v85
	s_delay_alu instid0(VALU_DEP_2) | instskip(NEXT) | instid1(VALU_DEP_2)
	;; [unrolled: 3-line block ×3, first 2 shown]
	v_add_f16_e32 v2, v2, v18
	v_add_f16_e32 v3, v3, v6
	s_delay_alu instid0(VALU_DEP_1)
	v_pack_b32_f16 v91, v2, v3
	v_add_f16_e32 v2, v4, v5
	v_sub_f16_e32 v5, v5, v18
	v_add_f16_e32 v18, v86, v18
	v_sub_f16_e32 v4, v4, v86
	v_add_f16_e32 v3, v85, v88
	v_fma_f16 v93, -0.5, v2, v0
	v_sub_f16_e64 v86, v246, v252
	v_fma_f16 v0, -0.5, v18, v0
	v_add_f16_e32 v4, v4, v5
	v_add_f16_e32 v5, v76, v6
	v_fma_f16 v106, -0.5, v3, v89
	v_sub_f16_e32 v6, v88, v6
	v_fmamk_f16 v18, v102, 0x3b9c, v0
	v_fmac_f16_e32 v0, 0xbb9c, v102
	v_fmac_f16_e32 v89, -0.5, v5
	v_sub_f16_e32 v5, v85, v76
	v_fmamk_f16 v2, v94, 0xbb9c, v93
	v_fmac_f16_e32 v18, 0xb8b4, v94
	v_fmac_f16_e32 v0, 0x38b4, v94
	v_fmamk_f16 v3, v110, 0x3b9c, v106
	v_fmac_f16_e32 v93, 0x3b9c, v94
	v_fmac_f16_e32 v106, 0xbb9c, v110
	;; [unrolled: 1-line block ×4, first 2 shown]
	v_add_f16_e32 v4, v5, v6
	v_fmamk_f16 v5, v114, 0xbb9c, v89
	v_fmac_f16_e32 v89, 0x3b9c, v114
	v_fmac_f16_e32 v2, 0xb8b4, v102
	;; [unrolled: 1-line block ×13, first 2 shown]
	v_pack_b32_f16 v123, v2, v3
	v_pack_b32_f16 v4, v18, v5
	;; [unrolled: 1-line block ×3, first 2 shown]
	ds_load_2addr_b32 v[2:3], v117 offset0:122 offset1:247
	global_wb scope:SCOPE_SE
	s_wait_dscnt 0x0
	s_barrier_signal -1
	s_barrier_wait -1
	global_inv scope:SCOPE_SE
	ds_store_2addr_b32 v152, v4, v0 offset0:10 offset1:15
	v_pack_b32_f16 v0, v93, v106
	v_sub_f16_e64 v4, v252, v250
	v_sub_f16_e64 v5, v251, v249
	v_lshrrev_b32_e32 v6, 16, v1
	v_add_f16_e64 v85, v247, v249
	ds_store_b32 v152, v0 offset:80
	v_sub_f16_e64 v0, v246, v248
	v_sub_f16_e64 v9, v245, v251
	v_add_f16_e64 v7, v6, v245
	v_fma_f16 v85, -0.5, v85, v6
	v_sub_f16_e64 v76, v247, v249
	v_add_f16_e32 v0, v0, v4
	v_sub_f16_e64 v4, v245, v247
	v_add_f16_e64 v7, v7, v247
	v_fmamk_f16 v88, v86, 0x3b9c, v85
	v_sub_f16_e64 v89, v248, v250
	ds_store_2addr_b32 v152, v91, v123 offset1:5
	v_add_f16_e32 v4, v4, v5
	v_add_f16_e64 v5, v1, v246
	v_add_f16_e64 v7, v7, v249
	v_fmac_f16_e32 v88, 0x38b4, v89
	v_add_f16_e64 v93, v245, v251
	v_sub_f16_e64 v91, v247, v245
	v_add_f16_e64 v5, v5, v248
	v_add_f16_e64 v7, v7, v251
	v_fmac_f16_e32 v88, 0x34f2, v4
	v_sub_f16_e64 v94, v249, v251
	v_fmac_f16_e32 v6, -0.5, v93
	v_add_f16_e64 v5, v5, v250
	v_fmac_f16_e32 v85, 0xbb9c, v86
	s_delay_alu instid0(VALU_DEP_2) | instskip(NEXT) | instid1(VALU_DEP_2)
	v_add_f16_e64 v5, v5, v252
	v_fmac_f16_e32 v85, 0xb8b4, v89
	s_delay_alu instid0(VALU_DEP_2) | instskip(SKIP_1) | instid1(VALU_DEP_3)
	v_pack_b32_f16 v5, v5, v7
	v_add_f16_e64 v7, v248, v250
	v_fmac_f16_e32 v85, 0x34f2, v4
	v_sub_f16_e64 v4, v181, v176
	s_delay_alu instid0(VALU_DEP_3) | instskip(NEXT) | instid1(VALU_DEP_1)
	v_fma_f16 v7, -0.5, v7, v1
	v_fmamk_f16 v18, v9, 0xbb9c, v7
	v_fmac_f16_e32 v7, 0x3b9c, v9
	s_delay_alu instid0(VALU_DEP_2) | instskip(NEXT) | instid1(VALU_DEP_2)
	v_fmac_f16_e32 v18, 0xb8b4, v76
	v_fmac_f16_e32 v7, 0x38b4, v76
	s_delay_alu instid0(VALU_DEP_2) | instskip(NEXT) | instid1(VALU_DEP_2)
	v_fmac_f16_e32 v18, 0x34f2, v0
	v_fmac_f16_e32 v7, 0x34f2, v0
	s_delay_alu instid0(VALU_DEP_2) | instskip(SKIP_1) | instid1(VALU_DEP_3)
	v_pack_b32_f16 v18, v18, v88
	v_sub_f16_e64 v88, v250, v252
	v_pack_b32_f16 v0, v7, v85
	v_sub_f16_e64 v7, v151, v181
	v_sub_f16_e64 v85, v150, v184
	ds_store_2addr_b32 v154, v5, v18 offset1:5
	v_add_f16_e64 v18, v246, v252
	v_sub_f16_e64 v5, v248, v246
	ds_store_b32 v154, v0 offset:80
	v_sub_f16_e64 v0, v150, v180
	v_fmac_f16_e32 v1, -0.5, v18
	v_add_f16_e32 v5, v5, v88
	v_add_f16_e32 v18, v91, v94
	v_fmamk_f16 v91, v89, 0xbb9c, v6
	v_fmac_f16_e32 v6, 0x3b9c, v89
	v_fmamk_f16 v88, v76, 0x3b9c, v1
	v_fmac_f16_e32 v1, 0xbb9c, v76
	v_add_f16_e64 v76, v174, v176
	v_fmac_f16_e32 v91, 0x38b4, v86
	v_fmac_f16_e32 v6, 0xb8b4, v86
	;; [unrolled: 1-line block ×4, first 2 shown]
	v_sub_f16_e64 v89, v176, v181
	v_fmac_f16_e32 v91, 0x34f2, v18
	v_fmac_f16_e32 v6, 0x34f2, v18
	;; [unrolled: 1-line block ×4, first 2 shown]
	v_sub_f16_e64 v18, v174, v176
	s_delay_alu instid0(VALU_DEP_3) | instskip(NEXT) | instid1(VALU_DEP_3)
	v_pack_b32_f16 v5, v88, v91
	v_pack_b32_f16 v1, v1, v6
	v_sub_f16_e64 v88, v180, v153
	ds_store_2addr_b32 v154, v5, v1 offset0:10 offset1:15
	v_sub_f16_e64 v1, v184, v153
	v_lshrrev_b32_e32 v5, 16, v2
	s_delay_alu instid0(VALU_DEP_2) | instskip(SKIP_1) | instid1(VALU_DEP_3)
	v_add_f16_e32 v0, v0, v1
	v_sub_f16_e64 v1, v151, v174
	v_add_f16_e64 v6, v5, v151
	v_fma_f16 v76, -0.5, v76, v5
	s_delay_alu instid0(VALU_DEP_3) | instskip(SKIP_1) | instid1(VALU_DEP_4)
	v_add_f16_e32 v1, v1, v4
	v_add_f16_e64 v4, v2, v150
	v_add_f16_e64 v6, v6, v174
	s_delay_alu instid0(VALU_DEP_4) | instskip(SKIP_1) | instid1(VALU_DEP_4)
	v_fmamk_f16 v86, v85, 0x3b9c, v76
	v_fmac_f16_e32 v76, 0xbb9c, v85
	v_add_f16_e64 v4, v4, v180
	s_delay_alu instid0(VALU_DEP_4) | instskip(NEXT) | instid1(VALU_DEP_4)
	v_add_f16_e64 v6, v6, v176
	v_fmac_f16_e32 v86, 0x38b4, v88
	s_delay_alu instid0(VALU_DEP_4) | instskip(NEXT) | instid1(VALU_DEP_4)
	v_fmac_f16_e32 v76, 0xb8b4, v88
	v_add_f16_e64 v4, v4, v153
	s_delay_alu instid0(VALU_DEP_4) | instskip(NEXT) | instid1(VALU_DEP_4)
	v_add_f16_e64 v6, v6, v181
	v_fmac_f16_e32 v86, 0x34f2, v1
	s_delay_alu instid0(VALU_DEP_4) | instskip(SKIP_2) | instid1(VALU_DEP_1)
	v_fmac_f16_e32 v76, 0x34f2, v1
	v_sub_f16_e64 v1, v21, v149
	v_add_f16_e64 v4, v4, v184
	v_pack_b32_f16 v4, v4, v6
	v_add_f16_e64 v6, v180, v153
	s_delay_alu instid0(VALU_DEP_1) | instskip(NEXT) | instid1(VALU_DEP_1)
	v_fma_f16 v6, -0.5, v6, v2
	v_fmamk_f16 v9, v7, 0xbb9c, v6
	v_fmac_f16_e32 v6, 0x3b9c, v7
	s_delay_alu instid0(VALU_DEP_2) | instskip(NEXT) | instid1(VALU_DEP_2)
	v_fmac_f16_e32 v9, 0xb8b4, v18
	v_fmac_f16_e32 v6, 0x38b4, v18
	s_delay_alu instid0(VALU_DEP_2) | instskip(NEXT) | instid1(VALU_DEP_2)
	v_fmac_f16_e32 v9, 0x34f2, v0
	v_fmac_f16_e32 v6, 0x34f2, v0
	s_delay_alu instid0(VALU_DEP_2) | instskip(SKIP_1) | instid1(VALU_DEP_3)
	v_pack_b32_f16 v9, v9, v86
	v_add_f16_e64 v86, v150, v184
	v_pack_b32_f16 v0, v6, v76
	v_sub_f16_e32 v6, v22, v19
	v_sub_f16_e32 v76, v23, v21
	ds_store_2addr_b32 v155, v4, v9 offset1:5
	v_sub_f16_e64 v4, v180, v150
	v_sub_f16_e64 v9, v153, v184
	v_fma_f16 v2, -0.5, v86, v2
	ds_store_b32 v155, v0 offset:80
	v_sub_f16_e32 v0, v23, v20
	v_add_f16_e32 v4, v4, v9
	v_add_f16_e64 v9, v151, v181
	v_fmamk_f16 v86, v18, 0x3b9c, v2
	v_fmac_f16_e32 v2, 0xbb9c, v18
	v_add_f16_e32 v0, v0, v1
	v_sub_f16_e32 v1, v22, v77
	v_fmac_f16_e32 v5, -0.5, v9
	v_sub_f16_e64 v9, v174, v151
	v_fmac_f16_e32 v86, 0xb8b4, v7
	v_fmac_f16_e32 v2, 0x38b4, v7
	v_add_f16_e64 v18, v77, v148
	s_delay_alu instid0(VALU_DEP_3) | instskip(NEXT) | instid1(VALU_DEP_3)
	v_fmac_f16_e32 v86, 0x34f2, v4
	v_fmac_f16_e32 v2, 0x34f2, v4
	v_add_f16_e32 v4, v9, v89
	v_fmamk_f16 v9, v88, 0xbb9c, v5
	v_fmac_f16_e32 v5, 0x3b9c, v88
	s_delay_alu instid0(VALU_DEP_2) | instskip(NEXT) | instid1(VALU_DEP_2)
	v_fmac_f16_e32 v9, 0x38b4, v85
	v_fmac_f16_e32 v5, 0xb8b4, v85
	s_delay_alu instid0(VALU_DEP_2) | instskip(NEXT) | instid1(VALU_DEP_2)
	v_fmac_f16_e32 v9, 0x34f2, v4
	v_fmac_f16_e32 v5, 0x34f2, v4
	s_delay_alu instid0(VALU_DEP_2) | instskip(NEXT) | instid1(VALU_DEP_2)
	v_pack_b32_f16 v4, v86, v9
	v_pack_b32_f16 v2, v2, v5
	v_sub_f16_e64 v9, v77, v148
	v_sub_f16_e64 v86, v20, v149
	ds_store_2addr_b32 v155, v4, v2 offset0:10 offset1:15
	v_sub_f16_e64 v2, v19, v148
	v_lshrrev_b32_e32 v4, 16, v3
	s_delay_alu instid0(VALU_DEP_2) | instskip(SKIP_1) | instid1(VALU_DEP_3)
	v_add_f16_e32 v1, v1, v2
	v_add_f16_e32 v2, v3, v23
	;; [unrolled: 1-line block ×3, first 2 shown]
	v_fma_f16 v18, -0.5, v18, v4
	s_delay_alu instid0(VALU_DEP_3) | instskip(NEXT) | instid1(VALU_DEP_3)
	v_add_f16_e32 v2, v2, v20
	v_add_f16_e32 v5, v5, v77
	s_delay_alu instid0(VALU_DEP_3) | instskip(SKIP_1) | instid1(VALU_DEP_4)
	v_fmamk_f16 v85, v76, 0x3b9c, v18
	v_fmac_f16_e32 v18, 0xbb9c, v76
	v_add_f16_e64 v2, v2, v149
	s_delay_alu instid0(VALU_DEP_4) | instskip(NEXT) | instid1(VALU_DEP_4)
	v_add_f16_e64 v5, v5, v148
	v_fmac_f16_e32 v85, 0x38b4, v86
	s_delay_alu instid0(VALU_DEP_4) | instskip(NEXT) | instid1(VALU_DEP_4)
	v_fmac_f16_e32 v18, 0xb8b4, v86
	v_add_f16_e32 v2, v2, v21
	s_delay_alu instid0(VALU_DEP_4) | instskip(NEXT) | instid1(VALU_DEP_4)
	v_add_f16_e32 v5, v5, v19
	v_fmac_f16_e32 v85, 0x34f2, v1
	s_delay_alu instid0(VALU_DEP_4) | instskip(SKIP_1) | instid1(VALU_DEP_4)
	v_fmac_f16_e32 v18, 0x34f2, v1
	v_sub_f16_e32 v1, v17, v13
	v_pack_b32_f16 v2, v2, v5
	v_add_f16_e64 v5, v20, v149
	s_delay_alu instid0(VALU_DEP_1) | instskip(NEXT) | instid1(VALU_DEP_1)
	v_fma_f16 v5, -0.5, v5, v3
	v_fmamk_f16 v7, v6, 0xbb9c, v5
	v_fmac_f16_e32 v5, 0x3b9c, v6
	s_delay_alu instid0(VALU_DEP_2) | instskip(NEXT) | instid1(VALU_DEP_2)
	v_fmac_f16_e32 v7, 0xb8b4, v9
	v_fmac_f16_e32 v5, 0x38b4, v9
	s_delay_alu instid0(VALU_DEP_2) | instskip(NEXT) | instid1(VALU_DEP_2)
	v_fmac_f16_e32 v7, 0x34f2, v0
	v_fmac_f16_e32 v5, 0x34f2, v0
	s_delay_alu instid0(VALU_DEP_2) | instskip(NEXT) | instid1(VALU_DEP_2)
	v_pack_b32_f16 v7, v7, v85
	v_pack_b32_f16 v0, v5, v18
	v_sub_f16_e32 v5, v14, v11
	v_sub_f16_e32 v18, v12, v17
	ds_store_2addr_b32 v156, v2, v7 offset1:5
	v_sub_f16_e32 v2, v20, v23
	v_add_f16_e32 v7, v23, v21
	v_sub_f16_e64 v20, v149, v21
	v_sub_f16_e32 v21, v77, v22
	v_add_f16_e32 v22, v22, v19
	v_sub_f16_e64 v19, v148, v19
	v_fmac_f16_e32 v3, -0.5, v7
	v_add_f16_e32 v2, v2, v20
	ds_store_b32 v156, v0 offset:80
	v_fmac_f16_e32 v4, -0.5, v22
	v_add_f16_e32 v7, v21, v19
	v_fmamk_f16 v19, v9, 0x3b9c, v3
	v_fmac_f16_e32 v3, 0xbb9c, v9
	v_sub_f16_e32 v0, v12, v16
	v_fmamk_f16 v20, v86, 0xbb9c, v4
	v_fmac_f16_e32 v4, 0x3b9c, v86
	v_fmac_f16_e32 v19, 0xb8b4, v6
	;; [unrolled: 1-line block ×3, first 2 shown]
	v_add_f16_e32 v0, v0, v1
	v_fmac_f16_e32 v20, 0x38b4, v76
	v_fmac_f16_e32 v4, 0xb8b4, v76
	;; [unrolled: 1-line block ×4, first 2 shown]
	v_sub_f16_e32 v1, v14, v15
	v_fmac_f16_e32 v20, 0x34f2, v7
	v_fmac_f16_e32 v4, 0x34f2, v7
	v_add_f16_e32 v9, v15, v10
	v_sub_f16_e32 v7, v15, v10
	s_delay_alu instid0(VALU_DEP_4) | instskip(NEXT) | instid1(VALU_DEP_4)
	v_pack_b32_f16 v2, v19, v20
	v_pack_b32_f16 v3, v3, v4
	v_sub_f16_e32 v20, v16, v13
	ds_store_2addr_b32 v156, v2, v3 offset0:10 offset1:15
	v_sub_f16_e32 v2, v11, v10
	v_lshrrev_b32_e32 v3, 16, v8
	s_delay_alu instid0(VALU_DEP_2) | instskip(SKIP_1) | instid1(VALU_DEP_3)
	v_add_f16_e32 v1, v1, v2
	v_add_f16_e32 v2, v8, v12
	;; [unrolled: 1-line block ×3, first 2 shown]
	v_fma_f16 v9, -0.5, v9, v3
	s_delay_alu instid0(VALU_DEP_3) | instskip(NEXT) | instid1(VALU_DEP_3)
	v_add_f16_e32 v2, v2, v16
	v_add_f16_e32 v4, v4, v15
	s_delay_alu instid0(VALU_DEP_3) | instskip(SKIP_1) | instid1(VALU_DEP_4)
	v_fmamk_f16 v19, v18, 0x3b9c, v9
	v_fmac_f16_e32 v9, 0xbb9c, v18
	v_add_f16_e32 v2, v2, v13
	s_delay_alu instid0(VALU_DEP_4) | instskip(NEXT) | instid1(VALU_DEP_4)
	v_add_f16_e32 v4, v4, v10
	v_fmac_f16_e32 v19, 0x38b4, v20
	v_sub_f16_e32 v10, v10, v11
	v_fmac_f16_e32 v9, 0xb8b4, v20
	v_add_f16_e32 v2, v2, v17
	v_add_f16_e32 v4, v4, v11
	v_fmac_f16_e32 v19, 0x34f2, v1
	s_delay_alu instid0(VALU_DEP_4) | instskip(NEXT) | instid1(VALU_DEP_3)
	v_fmac_f16_e32 v9, 0x34f2, v1
	v_pack_b32_f16 v2, v2, v4
	v_add_f16_e32 v4, v16, v13
	s_delay_alu instid0(VALU_DEP_1) | instskip(NEXT) | instid1(VALU_DEP_1)
	v_fma_f16 v4, -0.5, v4, v8
	v_fmamk_f16 v6, v5, 0xbb9c, v4
	v_fmac_f16_e32 v4, 0x3b9c, v5
	s_delay_alu instid0(VALU_DEP_2) | instskip(NEXT) | instid1(VALU_DEP_2)
	v_fmac_f16_e32 v6, 0xb8b4, v7
	v_fmac_f16_e32 v4, 0x38b4, v7
	s_delay_alu instid0(VALU_DEP_2) | instskip(NEXT) | instid1(VALU_DEP_2)
	v_fmac_f16_e32 v6, 0x34f2, v0
	v_fmac_f16_e32 v4, 0x34f2, v0
	s_delay_alu instid0(VALU_DEP_2) | instskip(NEXT) | instid1(VALU_DEP_2)
	v_pack_b32_f16 v6, v6, v19
	v_pack_b32_f16 v0, v4, v9
	ds_store_2addr_b32 v157, v2, v6 offset1:5
	v_sub_f16_e32 v2, v16, v12
	v_add_f16_e32 v6, v12, v17
	v_sub_f16_e32 v12, v13, v17
	v_sub_f16_e32 v13, v15, v14
	v_add_f16_e32 v14, v14, v11
	ds_store_b32 v157, v0 offset:80
	v_fmac_f16_e32 v8, -0.5, v6
	v_add_f16_e32 v2, v2, v12
	v_add_f16_e32 v6, v13, v10
	v_fmac_f16_e32 v3, -0.5, v14
	s_delay_alu instid0(VALU_DEP_4) | instskip(SKIP_1) | instid1(VALU_DEP_3)
	v_fmamk_f16 v10, v7, 0x3b9c, v8
	v_fmac_f16_e32 v8, 0xbb9c, v7
	v_fmamk_f16 v11, v20, 0xbb9c, v3
	v_fmac_f16_e32 v3, 0x3b9c, v20
	s_delay_alu instid0(VALU_DEP_4) | instskip(NEXT) | instid1(VALU_DEP_4)
	v_fmac_f16_e32 v10, 0xb8b4, v5
	v_fmac_f16_e32 v8, 0x38b4, v5
	s_delay_alu instid0(VALU_DEP_4) | instskip(NEXT) | instid1(VALU_DEP_4)
	v_fmac_f16_e32 v11, 0x38b4, v18
	;; [unrolled: 3-line block ×4, first 2 shown]
	v_fmac_f16_e32 v3, 0x34f2, v6
	s_delay_alu instid0(VALU_DEP_2) | instskip(NEXT) | instid1(VALU_DEP_2)
	v_pack_b32_f16 v2, v10, v11
	v_pack_b32_f16 v3, v8, v3
	ds_store_2addr_b32 v157, v2, v3 offset0:10 offset1:15
	global_wb scope:SCOPE_SE
	s_wait_dscnt 0x0
	s_barrier_signal -1
	s_barrier_wait -1
	global_inv scope:SCOPE_SE
	ds_load_2addr_b32 v[0:1], v129 offset0:110 offset1:235
	ds_load_2addr_b32 v[4:5], v141 offset0:98 offset1:223
	s_wait_dscnt 0x1
	v_lshrrev_b32_e32 v2, 16, v0
	v_mul_f16_e64 v3, v206, v0
	s_delay_alu instid0(VALU_DEP_2) | instskip(NEXT) | instid1(VALU_DEP_2)
	v_mul_f16_e64 v148, v206, v2
	v_fma_f16 v77, v36, v2, -v3
	s_wait_dscnt 0x0
	v_lshrrev_b32_e32 v2, 16, v5
	v_mul_f16_e64 v3, v203, v5
	v_fmac_f16_e64 v148, v36, v0
	v_lshrrev_b32_e32 v0, 16, v1
	s_delay_alu instid0(VALU_DEP_4) | instskip(NEXT) | instid1(VALU_DEP_4)
	v_mul_f16_e64 v150, v203, v2
	v_fma_f16 v149, v37, v2, -v3
	ds_load_2addr_b32 v[2:3], v122 offset0:80 offset1:205
	v_mul_f16_e64 v22, v212, v0
	v_fmac_f16_e64 v150, v37, v5
	s_delay_alu instid0(VALU_DEP_2) | instskip(SKIP_1) | instid1(VALU_DEP_1)
	v_fmac_f16_e32 v22, v44, v1
	v_mul_f16_e64 v1, v212, v1
	v_fma_f16 v23, v44, v0, -v1
	ds_load_2addr_b32 v[0:1], v124 offset0:92 offset1:217
	s_wait_dscnt 0x1
	v_lshrrev_b32_e32 v6, 16, v2
	v_mul_f16_e64 v7, v205, v2
	s_delay_alu instid0(VALU_DEP_2) | instskip(NEXT) | instid1(VALU_DEP_2)
	v_mul_f16_e64 v152, v205, v6
	v_fma_f16 v151, v38, v6, -v7
	ds_load_2addr_b32 v[6:7], v139 offset0:68 offset1:193
	v_fmac_f16_e64 v152, v38, v2
	v_lshrrev_b32_e32 v2, 16, v3
	s_wait_dscnt 0x1
	v_lshrrev_b32_e32 v5, 16, v0
	s_delay_alu instid0(VALU_DEP_2) | instskip(NEXT) | instid1(VALU_DEP_1)
	v_mul_f16_e64 v36, v210, v2
	v_fmac_f16_e32 v36, v46, v3
	v_mul_f16_e64 v3, v210, v3
	s_delay_alu instid0(VALU_DEP_1) | instskip(SKIP_4) | instid1(VALU_DEP_2)
	v_fma_f16 v38, v46, v2, -v3
	ds_load_2addr_b32 v[2:3], v118 offset0:62 offset1:187
	s_wait_dscnt 0x1
	v_lshrrev_b32_e32 v8, 16, v7
	v_mul_f16_e64 v9, v202, v7
	v_mul_f16_e64 v154, v202, v8
	s_delay_alu instid0(VALU_DEP_2) | instskip(NEXT) | instid1(VALU_DEP_2)
	v_fma_f16 v153, v39, v8, -v9
	v_fmac_f16_e64 v154, v39, v7
	v_mul_f16_e64 v7, v213, v0
	v_mul_f16_e64 v39, v213, v5
	s_delay_alu instid0(VALU_DEP_2) | instskip(NEXT) | instid1(VALU_DEP_2)
	v_fma_f16 v37, v45, v5, -v7
	v_fmac_f16_e32 v39, v45, v0
	s_wait_dscnt 0x0
	v_lshrrev_b32_e32 v5, 16, v2
	v_mul_f16_e64 v7, v211, v2
	v_lshrrev_b32_e32 v9, 16, v3
	s_delay_alu instid0(VALU_DEP_3) | instskip(NEXT) | instid1(VALU_DEP_3)
	v_mul_f16_e64 v46, v211, v5
	v_fma_f16 v44, v47, v5, -v7
	v_mul_f16_e64 v5, v215, v1
	s_delay_alu instid0(VALU_DEP_4) | instskip(NEXT) | instid1(VALU_DEP_4)
	v_mul_f16_e64 v15, v214, v9
	v_fmac_f16_e32 v46, v47, v2
	v_lshrrev_b32_e32 v2, 16, v1
	s_delay_alu instid0(VALU_DEP_3) | instskip(SKIP_1) | instid1(VALU_DEP_3)
	v_fmac_f16_e32 v15, v43, v3
	v_mul_f16_e64 v3, v214, v3
	v_mul_f16_e64 v14, v215, v2
	v_fma_f16 v18, v41, v2, -v5
	s_delay_alu instid0(VALU_DEP_3) | instskip(NEXT) | instid1(VALU_DEP_3)
	v_fma_f16 v20, v43, v9, -v3
	v_fmac_f16_e32 v14, v41, v1
	ds_load_2addr_b32 v[0:1], v101 offset0:104 offset1:229
	s_wait_dscnt 0x0
	v_lshrrev_b32_e32 v7, 16, v0
	v_mul_f16_e64 v8, v217, v0
	s_delay_alu instid0(VALU_DEP_2) | instskip(NEXT) | instid1(VALU_DEP_2)
	v_mul_f16_e64 v17, v217, v7
	v_fma_f16 v16, v40, v7, -v8
	ds_load_2addr_b32 v[7:8], v96 offset0:74 offset1:199
	v_fmac_f16_e32 v17, v40, v0
	v_lshrrev_b32_e32 v0, 16, v1
	s_wait_dscnt 0x0
	v_lshrrev_b32_e32 v2, 16, v7
	v_mul_f16_e64 v5, v216, v7
	s_delay_alu instid0(VALU_DEP_2) | instskip(NEXT) | instid1(VALU_DEP_2)
	v_mul_f16_e64 v21, v216, v2
	v_fma_f16 v19, v42, v2, -v5
	v_mul_f16_e64 v2, v221, v0
	v_lshrrev_b32_e32 v5, 16, v8
	s_delay_alu instid0(VALU_DEP_4) | instskip(SKIP_1) | instid1(VALU_DEP_4)
	v_fmac_f16_e32 v21, v42, v7
	v_mul_f16_e64 v7, v220, v8
	v_fmac_f16_e32 v2, v32, v1
	v_mul_f16_e64 v1, v221, v1
	v_mul_f16_e64 v3, v220, v5
	s_delay_alu instid0(VALU_DEP_1) | instskip(NEXT) | instid1(VALU_DEP_3)
	v_fmac_f16_e32 v3, v34, v8
	v_fma_f16 v8, v32, v0, -v1
	ds_load_2addr_b32 v[0:1], v142 offset0:86 offset1:211
	s_wait_dscnt 0x0
	v_lshrrev_b32_e32 v9, 16, v0
	v_mul_f16_e64 v10, v218, v0
	s_delay_alu instid0(VALU_DEP_2) | instskip(NEXT) | instid1(VALU_DEP_2)
	v_mul_f16_e64 v11, v218, v9
	v_fma_f16 v10, v33, v9, -v10
	v_fma_f16 v9, v34, v5, -v7
	ds_load_b32 v5, v87 offset:12000
	v_mul_f16_e64 v34, v196, v1
	v_fmac_f16_e32 v11, v33, v0
	s_wait_dscnt 0x0
	v_lshrrev_b32_e32 v7, 16, v5
	v_mul_f16_e64 v13, v219, v5
	s_delay_alu instid0(VALU_DEP_2) | instskip(NEXT) | instid1(VALU_DEP_2)
	v_mul_f16_e64 v12, v219, v7
	v_fma_f16 v13, v35, v7, -v13
	v_lshrrev_b32_e32 v7, 16, v1
	s_delay_alu instid0(VALU_DEP_3) | instskip(SKIP_1) | instid1(VALU_DEP_3)
	v_fmac_f16_e32 v12, v35, v5
	v_lshrrev_b32_e32 v5, 16, v4
	v_mul_f16_e64 v33, v196, v7
	v_lshrrev_b32_e32 v35, 16, v6
	s_delay_alu instid0(VALU_DEP_3) | instskip(NEXT) | instid1(VALU_DEP_3)
	v_mul_f16_e64 v32, v195, v5
	v_fmac_f16_e32 v33, v30, v1
	ds_load_2addr_b32 v[0:1], v143 offset0:116 offset1:241
	v_mul_f16_e64 v40, v197, v35
	v_fma_f16 v30, v30, v7, -v34
	v_fmac_f16_e32 v32, v29, v4
	v_mul_f16_e64 v4, v195, v4
	s_delay_alu instid0(VALU_DEP_4) | instskip(SKIP_1) | instid1(VALU_DEP_4)
	v_fmac_f16_e32 v40, v31, v6
	v_mul_f16_e64 v6, v197, v6
	v_sub_f16_e32 v86, v32, v33
	s_delay_alu instid0(VALU_DEP_4) | instskip(NEXT) | instid1(VALU_DEP_4)
	v_fma_f16 v29, v29, v5, -v4
	v_sub_f16_e32 v4, v40, v33
	s_delay_alu instid0(VALU_DEP_4) | instskip(NEXT) | instid1(VALU_DEP_3)
	v_fma_f16 v31, v31, v35, -v6
	v_sub_f16_e32 v47, v29, v30
	s_delay_alu instid0(VALU_DEP_2) | instskip(SKIP_3) | instid1(VALU_DEP_2)
	v_sub_f16_e32 v5, v31, v30
	s_wait_dscnt 0x0
	v_lshrrev_b32_e32 v41, 16, v1
	v_mul_f16_e64 v42, v191, v1
	v_mul_f16_e64 v43, v191, v41
	s_delay_alu instid0(VALU_DEP_2) | instskip(NEXT) | instid1(VALU_DEP_2)
	v_fma_f16 v41, v28, v41, -v42
	v_fmac_f16_e32 v43, v28, v1
	s_delay_alu instid0(VALU_DEP_2) | instskip(NEXT) | instid1(VALU_DEP_2)
	v_sub_f16_e32 v45, v41, v31
	v_sub_f16_e32 v1, v43, v32
	;; [unrolled: 1-line block ×3, first 2 shown]
	s_delay_alu instid0(VALU_DEP_2) | instskip(SKIP_1) | instid1(VALU_DEP_1)
	v_add_f16_e32 v1, v1, v4
	v_sub_f16_e32 v4, v41, v29
	v_add_f16_e32 v28, v4, v5
	ds_load_2addr_b32 v[4:5], v87 offset1:125
	s_wait_dscnt 0x0
	v_lshrrev_b32_e32 v34, 16, v4
	v_add_f16_e32 v6, v4, v43
	s_delay_alu instid0(VALU_DEP_2) | instskip(NEXT) | instid1(VALU_DEP_2)
	v_add_f16_e32 v7, v34, v41
	v_add_f16_e32 v6, v6, v32
	s_delay_alu instid0(VALU_DEP_2) | instskip(NEXT) | instid1(VALU_DEP_2)
	v_add_f16_e32 v7, v7, v29
	;; [unrolled: 3-line block ×3, first 2 shown]
	v_add_f16_e32 v6, v6, v40
	s_delay_alu instid0(VALU_DEP_2) | instskip(NEXT) | instid1(VALU_DEP_1)
	v_add_f16_e32 v7, v7, v31
	v_pack_b32_f16 v35, v6, v7
	v_add_f16_e32 v6, v32, v33
	v_add_f16_e32 v7, v29, v30
	v_sub_f16_e32 v32, v32, v43
	v_sub_f16_e32 v33, v33, v40
	;; [unrolled: 1-line block ×3, first 2 shown]
	v_fma_f16 v42, -0.5, v6, v4
	v_fma_f16 v76, -0.5, v7, v34
	v_sub_f16_e32 v30, v30, v31
	v_add_f16_e32 v32, v32, v33
	v_add_f16_e32 v33, v41, v31
	v_fmamk_f16 v6, v45, 0xbb9c, v42
	v_fmamk_f16 v7, v85, 0x3b9c, v76
	v_add_f16_e32 v29, v29, v30
	v_fmac_f16_e32 v42, 0x3b9c, v45
	v_fmac_f16_e32 v34, -0.5, v33
	v_fmac_f16_e32 v6, 0xb8b4, v47
	v_fmac_f16_e32 v7, 0x38b4, v86
	;; [unrolled: 1-line block ×4, first 2 shown]
	v_fmamk_f16 v30, v86, 0xbb9c, v34
	v_fmac_f16_e32 v6, 0x34f2, v1
	v_fmac_f16_e32 v7, 0x34f2, v28
	;; [unrolled: 1-line block ×6, first 2 shown]
	v_pack_b32_f16 v88, v6, v7
	ds_load_2addr_b32 v[6:7], v117 offset0:122 offset1:247
	global_wb scope:SCOPE_SE
	s_wait_dscnt 0x0
	s_barrier_signal -1
	s_barrier_wait -1
	global_inv scope:SCOPE_SE
	ds_store_2addr_b32 v158, v35, v88 offset1:25
	v_add_f16_e32 v35, v43, v40
	v_fmac_f16_e32 v34, 0xb8b4, v85
	v_fmac_f16_e32 v30, 0x34f2, v29
	;; [unrolled: 1-line block ×3, first 2 shown]
	v_sub_f16_e64 v28, v153, v151
	v_fma_f16 v4, -0.5, v35, v4
	v_fmac_f16_e32 v34, 0x34f2, v29
	v_sub_f16_e64 v35, v148, v154
	v_pack_b32_f16 v1, v42, v76
	v_sub_f16_e64 v33, v149, v151
	v_fmamk_f16 v31, v47, 0x3b9c, v4
	v_fmac_f16_e32 v4, 0xbb9c, v47
	v_sub_f16_e64 v41, v150, v152
	ds_store_b32 v158, v1 offset:400
	v_sub_f16_e64 v1, v148, v150
	v_fmac_f16_e32 v31, 0xb8b4, v45
	v_fmac_f16_e32 v4, 0x38b4, v45
	v_add_f16_e64 v43, v77, v153
	v_sub_f16_e64 v42, v149, v77
	v_sub_f16_e64 v45, v151, v153
	v_fmac_f16_e32 v31, 0x34f2, v32
	v_fmac_f16_e32 v4, 0x34f2, v32
	s_delay_alu instid0(VALU_DEP_2) | instskip(NEXT) | instid1(VALU_DEP_2)
	v_pack_b32_f16 v29, v31, v30
	v_pack_b32_f16 v4, v4, v34
	v_add_f16_e64 v34, v149, v151
	v_sub_f16_e64 v31, v77, v153
	ds_store_2addr_b32 v158, v29, v4 offset0:50 offset1:75
	v_sub_f16_e64 v4, v154, v152
	v_lshrrev_b32_e32 v29, 16, v5
	s_delay_alu instid0(VALU_DEP_2) | instskip(SKIP_1) | instid1(VALU_DEP_3)
	v_add_f16_e32 v1, v1, v4
	v_sub_f16_e64 v4, v77, v149
	v_add_f16_e32 v30, v29, v77
	v_fma_f16 v34, -0.5, v34, v29
	v_fmac_f16_e32 v29, -0.5, v43
	s_delay_alu instid0(VALU_DEP_4) | instskip(SKIP_4) | instid1(VALU_DEP_4)
	v_add_f16_e32 v4, v4, v28
	v_add_f16_e64 v28, v5, v148
	v_add_f16_e64 v30, v30, v149
	v_fmamk_f16 v40, v35, 0x3b9c, v34
	v_fmac_f16_e32 v34, 0xbb9c, v35
	v_add_f16_e64 v28, v28, v150
	s_delay_alu instid0(VALU_DEP_4) | instskip(NEXT) | instid1(VALU_DEP_4)
	v_add_f16_e64 v30, v30, v151
	v_fmac_f16_e32 v40, 0x38b4, v41
	s_delay_alu instid0(VALU_DEP_4) | instskip(NEXT) | instid1(VALU_DEP_4)
	v_fmac_f16_e32 v34, 0xb8b4, v41
	v_add_f16_e64 v28, v28, v152
	s_delay_alu instid0(VALU_DEP_4) | instskip(NEXT) | instid1(VALU_DEP_4)
	v_add_f16_e64 v30, v30, v153
	v_fmac_f16_e32 v40, 0x34f2, v4
	s_delay_alu instid0(VALU_DEP_4) | instskip(SKIP_2) | instid1(VALU_DEP_1)
	v_fmac_f16_e32 v34, 0x34f2, v4
	v_sub_f16_e32 v4, v46, v36
	v_add_f16_e64 v28, v28, v154
	v_pack_b32_f16 v28, v28, v30
	v_add_f16_e64 v30, v150, v152
	s_delay_alu instid0(VALU_DEP_1) | instskip(NEXT) | instid1(VALU_DEP_1)
	v_fma_f16 v30, -0.5, v30, v5
	v_fmamk_f16 v32, v31, 0xbb9c, v30
	v_fmac_f16_e32 v30, 0x3b9c, v31
	s_delay_alu instid0(VALU_DEP_2) | instskip(NEXT) | instid1(VALU_DEP_2)
	v_fmac_f16_e32 v32, 0xb8b4, v33
	v_fmac_f16_e32 v30, 0x38b4, v33
	s_delay_alu instid0(VALU_DEP_2) | instskip(NEXT) | instid1(VALU_DEP_2)
	v_fmac_f16_e32 v32, 0x34f2, v1
	v_fmac_f16_e32 v30, 0x34f2, v1
	s_delay_alu instid0(VALU_DEP_2) | instskip(SKIP_1) | instid1(VALU_DEP_3)
	v_pack_b32_f16 v32, v32, v40
	v_sub_f16_e64 v40, v152, v154
	v_pack_b32_f16 v1, v30, v34
	v_sub_f16_e32 v30, v23, v44
	v_sub_f16_e32 v34, v22, v46
	ds_store_2addr_b32 v163, v28, v32 offset1:25
	v_add_f16_e64 v32, v148, v154
	v_sub_f16_e64 v28, v150, v148
	ds_store_b32 v163, v1 offset:400
	v_sub_f16_e32 v1, v22, v39
	v_fmac_f16_e32 v5, -0.5, v32
	v_add_f16_e32 v28, v28, v40
	v_add_f16_e32 v32, v42, v45
	v_fmamk_f16 v42, v41, 0xbb9c, v29
	v_fmac_f16_e32 v29, 0x3b9c, v41
	v_fmamk_f16 v40, v33, 0x3b9c, v5
	v_fmac_f16_e32 v5, 0xbb9c, v33
	v_add_f16_e32 v1, v1, v4
	v_fmac_f16_e32 v42, 0x38b4, v35
	v_fmac_f16_e32 v29, 0xb8b4, v35
	;; [unrolled: 1-line block ×4, first 2 shown]
	v_sub_f16_e32 v4, v23, v37
	v_fmac_f16_e32 v42, 0x34f2, v32
	v_fmac_f16_e32 v29, 0x34f2, v32
	;; [unrolled: 1-line block ×4, first 2 shown]
	v_add_f16_e32 v33, v37, v38
	v_sub_f16_e32 v32, v37, v38
	s_delay_alu instid0(VALU_DEP_4) | instskip(NEXT) | instid1(VALU_DEP_4)
	v_pack_b32_f16 v28, v40, v42
	v_pack_b32_f16 v5, v5, v29
	v_sub_f16_e32 v40, v39, v36
	ds_store_2addr_b32 v163, v28, v5 offset0:50 offset1:75
	v_sub_f16_e32 v5, v44, v38
	v_lshrrev_b32_e32 v28, 16, v6
	s_delay_alu instid0(VALU_DEP_2) | instskip(SKIP_1) | instid1(VALU_DEP_3)
	v_add_f16_e32 v4, v4, v5
	v_add_f16_e32 v5, v6, v22
	v_add_f16_e32 v29, v28, v23
	v_fma_f16 v33, -0.5, v33, v28
	s_delay_alu instid0(VALU_DEP_3) | instskip(NEXT) | instid1(VALU_DEP_3)
	v_add_f16_e32 v5, v5, v39
	v_add_f16_e32 v29, v29, v37
	s_delay_alu instid0(VALU_DEP_3) | instskip(SKIP_1) | instid1(VALU_DEP_4)
	v_fmamk_f16 v35, v34, 0x3b9c, v33
	v_fmac_f16_e32 v33, 0xbb9c, v34
	v_add_f16_e32 v5, v5, v36
	s_delay_alu instid0(VALU_DEP_4) | instskip(NEXT) | instid1(VALU_DEP_4)
	v_add_f16_e32 v29, v29, v38
	v_fmac_f16_e32 v35, 0x38b4, v40
	s_delay_alu instid0(VALU_DEP_4) | instskip(NEXT) | instid1(VALU_DEP_4)
	v_fmac_f16_e32 v33, 0xb8b4, v40
	v_add_f16_e32 v5, v5, v46
	s_delay_alu instid0(VALU_DEP_4) | instskip(NEXT) | instid1(VALU_DEP_4)
	v_add_f16_e32 v29, v29, v44
	v_fmac_f16_e32 v35, 0x34f2, v4
	s_delay_alu instid0(VALU_DEP_4) | instskip(SKIP_1) | instid1(VALU_DEP_4)
	v_fmac_f16_e32 v33, 0x34f2, v4
	v_sub_f16_e32 v4, v15, v21
	v_pack_b32_f16 v5, v5, v29
	v_add_f16_e32 v29, v39, v36
	s_delay_alu instid0(VALU_DEP_1) | instskip(NEXT) | instid1(VALU_DEP_1)
	v_fma_f16 v29, -0.5, v29, v6
	v_fmamk_f16 v31, v30, 0xbb9c, v29
	v_fmac_f16_e32 v29, 0x3b9c, v30
	s_delay_alu instid0(VALU_DEP_2) | instskip(NEXT) | instid1(VALU_DEP_2)
	v_fmac_f16_e32 v31, 0xb8b4, v32
	v_fmac_f16_e32 v29, 0x38b4, v32
	s_delay_alu instid0(VALU_DEP_2) | instskip(NEXT) | instid1(VALU_DEP_2)
	v_fmac_f16_e32 v31, 0x34f2, v1
	v_fmac_f16_e32 v29, 0x34f2, v1
	s_delay_alu instid0(VALU_DEP_2) | instskip(NEXT) | instid1(VALU_DEP_2)
	v_pack_b32_f16 v31, v31, v35
	v_pack_b32_f16 v1, v29, v33
	v_sub_f16_e32 v29, v18, v19
	v_sub_f16_e32 v33, v14, v21
	ds_store_2addr_b32 v167, v5, v31 offset1:25
	v_sub_f16_e32 v5, v39, v22
	v_add_f16_e32 v22, v22, v46
	v_sub_f16_e32 v31, v36, v46
	ds_store_b32 v167, v1 offset:400
	v_sub_f16_e32 v1, v17, v14
	v_fma_f16 v6, -0.5, v22, v6
	v_add_f16_e32 v5, v5, v31
	v_add_f16_e32 v31, v23, v44
	v_sub_f16_e32 v23, v37, v23
	v_add_f16_e32 v1, v1, v4
	v_fmamk_f16 v22, v32, 0x3b9c, v6
	v_fmac_f16_e32 v6, 0xbb9c, v32
	v_fmac_f16_e32 v28, -0.5, v31
	v_sub_f16_e32 v31, v38, v44
	v_sub_f16_e32 v4, v16, v18
	v_fmac_f16_e32 v22, 0xb8b4, v30
	v_fmac_f16_e32 v6, 0x38b4, v30
	v_add_f16_e32 v30, v18, v19
	s_delay_alu instid0(VALU_DEP_3) | instskip(NEXT) | instid1(VALU_DEP_3)
	v_fmac_f16_e32 v22, 0x34f2, v5
	v_fmac_f16_e32 v6, 0x34f2, v5
	v_add_f16_e32 v5, v23, v31
	v_fmamk_f16 v23, v40, 0xbb9c, v28
	v_fmac_f16_e32 v28, 0x3b9c, v40
	v_sub_f16_e32 v31, v17, v15
	s_delay_alu instid0(VALU_DEP_3) | instskip(NEXT) | instid1(VALU_DEP_3)
	v_fmac_f16_e32 v23, 0x38b4, v34
	v_fmac_f16_e32 v28, 0xb8b4, v34
	s_delay_alu instid0(VALU_DEP_2) | instskip(NEXT) | instid1(VALU_DEP_2)
	v_fmac_f16_e32 v23, 0x34f2, v5
	v_fmac_f16_e32 v28, 0x34f2, v5
	s_delay_alu instid0(VALU_DEP_2) | instskip(NEXT) | instid1(VALU_DEP_2)
	v_pack_b32_f16 v5, v22, v23
	v_pack_b32_f16 v6, v6, v28
	v_sub_f16_e32 v23, v16, v20
	ds_store_2addr_b32 v167, v5, v6 offset0:50 offset1:75
	v_sub_f16_e32 v5, v20, v19
	v_lshrrev_b32_e32 v6, 16, v7
	s_delay_alu instid0(VALU_DEP_2) | instskip(SKIP_1) | instid1(VALU_DEP_3)
	v_add_f16_e32 v4, v4, v5
	v_add_f16_e32 v5, v7, v17
	;; [unrolled: 1-line block ×3, first 2 shown]
	v_fma_f16 v30, -0.5, v30, v6
	s_delay_alu instid0(VALU_DEP_3) | instskip(NEXT) | instid1(VALU_DEP_3)
	v_add_f16_e32 v5, v5, v14
	v_add_f16_e32 v22, v22, v18
	s_delay_alu instid0(VALU_DEP_3) | instskip(SKIP_1) | instid1(VALU_DEP_4)
	v_fmamk_f16 v32, v31, 0x3b9c, v30
	v_fmac_f16_e32 v30, 0xbb9c, v31
	v_add_f16_e32 v5, v5, v21
	s_delay_alu instid0(VALU_DEP_4) | instskip(NEXT) | instid1(VALU_DEP_4)
	v_add_f16_e32 v22, v22, v19
	v_fmac_f16_e32 v32, 0x38b4, v33
	s_delay_alu instid0(VALU_DEP_4) | instskip(NEXT) | instid1(VALU_DEP_4)
	v_fmac_f16_e32 v30, 0xb8b4, v33
	v_add_f16_e32 v5, v5, v15
	s_delay_alu instid0(VALU_DEP_4) | instskip(NEXT) | instid1(VALU_DEP_4)
	v_add_f16_e32 v22, v22, v20
	v_fmac_f16_e32 v32, 0x34f2, v4
	s_delay_alu instid0(VALU_DEP_4) | instskip(SKIP_1) | instid1(VALU_DEP_4)
	v_fmac_f16_e32 v30, 0x34f2, v4
	v_sub_f16_e32 v4, v12, v3
	v_pack_b32_f16 v5, v5, v22
	v_add_f16_e32 v22, v14, v21
	s_delay_alu instid0(VALU_DEP_1) | instskip(NEXT) | instid1(VALU_DEP_1)
	v_fma_f16 v22, -0.5, v22, v7
	v_fmamk_f16 v28, v23, 0xbb9c, v22
	v_fmac_f16_e32 v22, 0x3b9c, v23
	s_delay_alu instid0(VALU_DEP_2) | instskip(NEXT) | instid1(VALU_DEP_2)
	v_fmac_f16_e32 v28, 0xb8b4, v29
	v_fmac_f16_e32 v22, 0x38b4, v29
	s_delay_alu instid0(VALU_DEP_2) | instskip(NEXT) | instid1(VALU_DEP_2)
	v_fmac_f16_e32 v28, 0x34f2, v1
	v_fmac_f16_e32 v22, 0x34f2, v1
	s_delay_alu instid0(VALU_DEP_2) | instskip(NEXT) | instid1(VALU_DEP_2)
	v_pack_b32_f16 v28, v28, v32
	v_pack_b32_f16 v1, v22, v30
	ds_store_2addr_b32 v170, v5, v28 offset1:25
	v_sub_f16_e32 v5, v14, v17
	v_add_f16_e32 v14, v17, v15
	v_sub_f16_e32 v17, v18, v16
	v_add_f16_e32 v16, v16, v20
	v_sub_f16_e32 v15, v21, v15
	v_sub_f16_e32 v18, v19, v20
	v_fmac_f16_e32 v7, -0.5, v14
	ds_store_b32 v170, v1 offset:400
	v_fmac_f16_e32 v6, -0.5, v16
	v_add_f16_e32 v5, v5, v15
	v_add_f16_e32 v14, v17, v18
	v_fmamk_f16 v15, v29, 0x3b9c, v7
	v_fmac_f16_e32 v7, 0xbb9c, v29
	v_fmamk_f16 v16, v33, 0xbb9c, v6
	v_fmac_f16_e32 v6, 0x3b9c, v33
	v_sub_f16_e32 v1, v2, v11
	v_fmac_f16_e32 v15, 0xb8b4, v23
	v_fmac_f16_e32 v7, 0x38b4, v23
	;; [unrolled: 1-line block ×4, first 2 shown]
	v_add_f16_e32 v1, v1, v4
	v_fmac_f16_e32 v15, 0x34f2, v5
	v_fmac_f16_e32 v7, 0x34f2, v5
	;; [unrolled: 1-line block ×4, first 2 shown]
	v_sub_f16_e32 v4, v8, v10
	v_add_f16_e32 v17, v10, v9
	v_sub_f16_e32 v14, v8, v13
	v_pack_b32_f16 v5, v15, v16
	v_pack_b32_f16 v6, v7, v6
	v_sub_f16_e32 v18, v2, v12
	v_sub_f16_e32 v16, v10, v9
	;; [unrolled: 1-line block ×3, first 2 shown]
	ds_store_2addr_b32 v170, v5, v6 offset0:50 offset1:75
	v_sub_f16_e32 v5, v13, v9
	v_lshrrev_b32_e32 v6, 16, v0
	s_delay_alu instid0(VALU_DEP_2) | instskip(SKIP_1) | instid1(VALU_DEP_3)
	v_add_f16_e32 v4, v4, v5
	v_add_f16_e32 v5, v0, v2
	;; [unrolled: 1-line block ×3, first 2 shown]
	v_fma_f16 v17, -0.5, v17, v6
	s_delay_alu instid0(VALU_DEP_3) | instskip(NEXT) | instid1(VALU_DEP_3)
	v_add_f16_e32 v5, v5, v11
	v_add_f16_e32 v7, v7, v10
	s_delay_alu instid0(VALU_DEP_3)
	v_fmamk_f16 v19, v18, 0x3b9c, v17
	v_sub_f16_e32 v10, v10, v8
	v_add_f16_e32 v8, v8, v13
	v_add_f16_e32 v5, v5, v3
	;; [unrolled: 1-line block ×3, first 2 shown]
	v_fmac_f16_e32 v19, 0x38b4, v20
	v_sub_f16_e32 v9, v9, v13
	v_fmac_f16_e32 v6, -0.5, v8
	v_add_f16_e32 v5, v5, v12
	v_add_f16_e32 v7, v7, v13
	v_fmac_f16_e32 v19, 0x34f2, v4
	v_fmac_f16_e32 v17, 0xbb9c, v18
	v_fmamk_f16 v8, v20, 0xbb9c, v6
	v_fmac_f16_e32 v6, 0x3b9c, v20
	v_pack_b32_f16 v5, v5, v7
	v_add_f16_e32 v7, v11, v3
	v_sub_f16_e32 v3, v3, v12
	v_fmac_f16_e32 v8, 0x38b4, v18
	v_fmac_f16_e32 v6, 0xb8b4, v18
	;; [unrolled: 1-line block ×3, first 2 shown]
	v_fma_f16 v7, -0.5, v7, v0
	s_delay_alu instid0(VALU_DEP_2) | instskip(NEXT) | instid1(VALU_DEP_2)
	v_fmac_f16_e32 v17, 0x34f2, v4
	v_fmamk_f16 v15, v14, 0xbb9c, v7
	v_fmac_f16_e32 v7, 0x3b9c, v14
	s_delay_alu instid0(VALU_DEP_2) | instskip(NEXT) | instid1(VALU_DEP_2)
	v_fmac_f16_e32 v15, 0xb8b4, v16
	v_fmac_f16_e32 v7, 0x38b4, v16
	s_delay_alu instid0(VALU_DEP_2) | instskip(NEXT) | instid1(VALU_DEP_2)
	v_fmac_f16_e32 v15, 0x34f2, v1
	v_fmac_f16_e32 v7, 0x34f2, v1
	s_delay_alu instid0(VALU_DEP_2) | instskip(SKIP_3) | instid1(VALU_DEP_1)
	v_pack_b32_f16 v15, v15, v19
	ds_store_2addr_b32 v171, v5, v15 offset1:25
	v_sub_f16_e32 v5, v11, v2
	v_add_f16_e32 v2, v2, v12
	v_fmac_f16_e32 v0, -0.5, v2
	s_delay_alu instid0(VALU_DEP_3) | instskip(SKIP_1) | instid1(VALU_DEP_3)
	v_add_f16_e32 v2, v5, v3
	v_add_f16_e32 v3, v10, v9
	v_fmamk_f16 v5, v16, 0x3b9c, v0
	v_fmac_f16_e32 v0, 0xbb9c, v16
	s_delay_alu instid0(VALU_DEP_3) | instskip(SKIP_1) | instid1(VALU_DEP_4)
	v_fmac_f16_e32 v6, 0x34f2, v3
	v_fmac_f16_e32 v8, 0x34f2, v3
	;; [unrolled: 1-line block ×3, first 2 shown]
	s_delay_alu instid0(VALU_DEP_4) | instskip(NEXT) | instid1(VALU_DEP_2)
	v_fmac_f16_e32 v0, 0x38b4, v14
	v_fmac_f16_e32 v5, 0x34f2, v2
	s_delay_alu instid0(VALU_DEP_2) | instskip(NEXT) | instid1(VALU_DEP_2)
	v_fmac_f16_e32 v0, 0x34f2, v2
	v_pack_b32_f16 v2, v5, v8
	s_delay_alu instid0(VALU_DEP_2)
	v_pack_b32_f16 v0, v0, v6
	ds_store_2addr_b32 v171, v2, v0 offset0:50 offset1:75
	v_pack_b32_f16 v0, v7, v17
	ds_store_b32 v171, v0 offset:400
	global_wb scope:SCOPE_SE
	s_wait_dscnt 0x0
	s_barrier_signal -1
	s_barrier_wait -1
	global_inv scope:SCOPE_SE
	ds_load_2addr_b32 v[0:1], v129 offset0:110 offset1:235
	ds_load_2addr_b32 v[35:36], v141 offset0:98 offset1:223
	s_wait_dscnt 0x1
	v_lshrrev_b32_e32 v2, 16, v1
	v_mul_f16_e64 v3, v228, v1
	s_wait_dscnt 0x0
	v_mul_f16_e64 v39, v209, v35
	v_lshrrev_b32_e32 v38, 16, v36
	v_mul_f16_e64 v23, v228, v2
	v_fma_f16 v22, v52, v2, -v3
	ds_load_2addr_b32 v[2:3], v124 offset0:92 offset1:217
	v_mul_f16_e64 v34, v209, v38
	v_fmac_f16_e32 v23, v52, v1
	v_lshrrev_b32_e32 v52, 16, v0
	s_delay_alu instid0(VALU_DEP_3) | instskip(SKIP_1) | instid1(VALU_DEP_1)
	v_fmac_f16_e32 v34, v49, v36
	v_mul_f16_e64 v36, v209, v36
	v_fma_f16 v36, v49, v38, -v36
	s_wait_dscnt 0x0
	v_lshrrev_b32_e32 v4, 16, v2
	v_mul_f16_e64 v5, v229, v2
	v_lshrrev_b32_e32 v1, 16, v3
	s_delay_alu instid0(VALU_DEP_3) | instskip(NEXT) | instid1(VALU_DEP_3)
	v_mul_f16_e64 v29, v229, v4
	v_fma_f16 v28, v53, v4, -v5
	ds_load_2addr_b32 v[4:5], v122 offset0:80 offset1:205
	v_mul_f16_e64 v14, v237, v1
	v_fmac_f16_e32 v29, v53, v2
	v_mul_f16_e64 v53, v204, v52
	s_delay_alu instid0(VALU_DEP_3) | instskip(NEXT) | instid1(VALU_DEP_2)
	v_fmac_f16_e32 v14, v61, v3
	v_fmac_f16_e32 v53, v48, v0
	s_wait_dscnt 0x0
	v_lshrrev_b32_e32 v6, 16, v5
	v_mul_f16_e64 v7, v225, v5
	v_lshrrev_b32_e32 v42, 16, v4
	v_mul_f16_e64 v43, v208, v4
	s_delay_alu instid0(VALU_DEP_4) | instskip(NEXT) | instid1(VALU_DEP_4)
	v_mul_f16_e64 v31, v225, v6
	v_fma_f16 v30, v54, v6, -v7
	ds_load_2addr_b32 v[6:7], v118 offset0:62 offset1:187
	v_fma_f16 v38, v50, v42, -v43
	v_fmac_f16_e32 v31, v54, v5
	v_mul_f16_e64 v5, v237, v3
	ds_load_2addr_b32 v[2:3], v101 offset0:104 offset1:229
	v_mul_f16_e64 v54, v204, v0
	v_fma_f16 v18, v61, v1, -v5
	s_delay_alu instid0(VALU_DEP_2) | instskip(SKIP_3) | instid1(VALU_DEP_2)
	v_fma_f16 v52, v48, v52, -v54
	s_wait_dscnt 0x1
	v_lshrrev_b32_e32 v8, 16, v6
	v_mul_f16_e64 v9, v226, v6
	v_mul_f16_e64 v33, v226, v8
	s_delay_alu instid0(VALU_DEP_2)
	v_fma_f16 v32, v55, v8, -v9
	s_wait_dscnt 0x0
	v_mul_f16_e64 v9, v235, v2
	v_lshrrev_b32_e32 v8, 16, v7
	v_fmac_f16_e32 v33, v55, v6
	v_lshrrev_b32_e32 v6, 16, v2
	s_delay_alu instid0(VALU_DEP_3) | instskip(NEXT) | instid1(VALU_DEP_2)
	v_mul_f16_e64 v15, v231, v8
	v_mul_f16_e64 v17, v235, v6
	v_fma_f16 v16, v60, v6, -v9
	ds_load_2addr_b32 v[5:6], v96 offset0:74 offset1:199
	v_fmac_f16_e32 v15, v63, v7
	v_mul_f16_e64 v7, v231, v7
	v_fmac_f16_e32 v17, v60, v2
	s_delay_alu instid0(VALU_DEP_2) | instskip(SKIP_4) | instid1(VALU_DEP_3)
	v_fma_f16 v20, v63, v8, -v7
	s_wait_dscnt 0x0
	v_lshrrev_b32_e32 v1, 16, v5
	v_mul_f16_e64 v9, v233, v5
	v_lshrrev_b32_e32 v7, 16, v6
	v_mul_f16_e64 v21, v233, v1
	s_delay_alu instid0(VALU_DEP_3) | instskip(SKIP_2) | instid1(VALU_DEP_4)
	v_fma_f16 v19, v62, v1, -v9
	v_lshrrev_b32_e32 v1, 16, v3
	v_mul_f16_e64 v9, v243, v6
	v_fmac_f16_e32 v21, v62, v5
	v_mul_f16_e64 v5, v244, v3
	s_delay_alu instid0(VALU_DEP_4) | instskip(NEXT) | instid1(VALU_DEP_4)
	v_mul_f16_e64 v2, v244, v1
	v_fma_f16 v9, v58, v7, -v9
	s_delay_alu instid0(VALU_DEP_3) | instskip(NEXT) | instid1(VALU_DEP_3)
	v_fma_f16 v8, v56, v1, -v5
	v_fmac_f16_e32 v2, v56, v3
	v_mul_f16_e64 v3, v243, v7
	s_delay_alu instid0(VALU_DEP_1)
	v_fmac_f16_e32 v3, v58, v6
	ds_load_2addr_b32 v[5:6], v142 offset0:86 offset1:211
	s_wait_dscnt 0x0
	v_lshrrev_b32_e32 v1, 16, v5
	v_mul_f16_e64 v10, v241, v5
	v_lshrrev_b32_e32 v40, 16, v6
	s_delay_alu instid0(VALU_DEP_3) | instskip(NEXT) | instid1(VALU_DEP_3)
	v_mul_f16_e64 v11, v241, v1
	v_fma_f16 v10, v57, v1, -v10
	ds_load_b32 v1, v87 offset:12000
	v_mul_f16_e64 v41, v208, v40
	v_fmac_f16_e32 v11, v57, v5
	s_delay_alu instid0(VALU_DEP_2) | instskip(SKIP_1) | instid1(VALU_DEP_1)
	v_fmac_f16_e32 v41, v50, v6
	v_mul_f16_e64 v6, v208, v6
	v_fma_f16 v40, v50, v40, -v6
	s_wait_dscnt 0x0
	v_lshrrev_b32_e32 v7, 16, v1
	v_mul_f16_e64 v13, v242, v1
	s_delay_alu instid0(VALU_DEP_2) | instskip(NEXT) | instid1(VALU_DEP_2)
	v_mul_f16_e64 v12, v242, v7
	v_fma_f16 v13, v59, v7, -v13
	v_lshrrev_b32_e32 v7, 16, v35
	s_delay_alu instid0(VALU_DEP_3) | instskip(SKIP_3) | instid1(VALU_DEP_2)
	v_fmac_f16_e32 v12, v59, v1
	ds_load_2addr_b32 v[0:1], v143 offset0:116 offset1:241
	v_mul_f16_e64 v37, v209, v7
	v_fma_f16 v39, v49, v7, -v39
	v_fmac_f16_e32 v37, v49, v35
	v_mul_f16_e64 v35, v208, v42
	s_delay_alu instid0(VALU_DEP_2) | instskip(NEXT) | instid1(VALU_DEP_2)
	v_sub_f16_e32 v58, v37, v41
	v_fmac_f16_e32 v35, v50, v4
	ds_load_2addr_b32 v[4:5], v139 offset0:68 offset1:193
	s_wait_dscnt 0x1
	v_lshrrev_b32_e32 v55, 16, v1
	v_mul_f16_e64 v56, v204, v1
	s_delay_alu instid0(VALU_DEP_2) | instskip(NEXT) | instid1(VALU_DEP_2)
	v_mul_f16_e64 v57, v204, v55
	v_fma_f16 v55, v48, v55, -v56
	s_delay_alu instid0(VALU_DEP_2) | instskip(SKIP_3) | instid1(VALU_DEP_3)
	v_fmac_f16_e32 v57, v48, v1
	s_wait_dscnt 0x0
	v_lshrrev_b32_e32 v44, 16, v4
	v_lshrrev_b32_e32 v46, 16, v5
	v_sub_f16_e32 v1, v57, v37
	s_delay_alu instid0(VALU_DEP_3) | instskip(NEXT) | instid1(VALU_DEP_3)
	v_mul_f16_e64 v45, v207, v44
	v_mul_f16_e64 v47, v207, v46
	s_delay_alu instid0(VALU_DEP_2) | instskip(SKIP_1) | instid1(VALU_DEP_3)
	v_fmac_f16_e32 v45, v51, v4
	v_mul_f16_e64 v4, v207, v4
	v_fmac_f16_e32 v47, v51, v5
	v_mul_f16_e64 v5, v207, v5
	s_delay_alu instid0(VALU_DEP_4) | instskip(NEXT) | instid1(VALU_DEP_4)
	v_sub_f16_e32 v56, v57, v45
	v_fma_f16 v44, v51, v44, -v4
	v_sub_f16_e32 v4, v45, v41
	s_delay_alu instid0(VALU_DEP_4) | instskip(SKIP_1) | instid1(VALU_DEP_4)
	v_fma_f16 v42, v51, v46, -v5
	v_sub_f16_e32 v51, v39, v40
	v_sub_f16_e32 v5, v44, v40
	s_delay_alu instid0(VALU_DEP_4) | instskip(SKIP_2) | instid1(VALU_DEP_2)
	v_add_f16_e32 v1, v1, v4
	v_sub_f16_e32 v4, v55, v39
	v_sub_f16_e32 v50, v55, v44
	v_add_f16_e32 v43, v4, v5
	ds_load_2addr_b32 v[4:5], v87 offset1:125
	s_wait_dscnt 0x0
	v_lshrrev_b32_e32 v46, 16, v4
	v_add_f16_e32 v6, v4, v57
	s_delay_alu instid0(VALU_DEP_2) | instskip(NEXT) | instid1(VALU_DEP_2)
	v_add_f16_e32 v7, v46, v55
	v_add_f16_e32 v6, v6, v37
	s_delay_alu instid0(VALU_DEP_2) | instskip(NEXT) | instid1(VALU_DEP_2)
	v_add_f16_e32 v7, v7, v39
	;; [unrolled: 3-line block ×3, first 2 shown]
	v_add_f16_e32 v6, v6, v45
	s_delay_alu instid0(VALU_DEP_2) | instskip(NEXT) | instid1(VALU_DEP_1)
	v_add_f16_e32 v7, v7, v44
	v_pack_b32_f16 v48, v6, v7
	v_add_f16_e32 v6, v37, v41
	v_sub_f16_e32 v37, v37, v57
	v_sub_f16_e32 v41, v41, v45
	v_add_f16_e32 v45, v57, v45
	v_add_f16_e32 v7, v39, v40
	v_fma_f16 v49, -0.5, v6, v4
	v_sub_f16_e32 v39, v39, v55
	v_add_f16_e32 v37, v37, v41
	v_add_f16_e32 v41, v55, v44
	v_fma_f16 v4, -0.5, v45, v4
	v_fma_f16 v54, -0.5, v7, v46
	v_sub_f16_e32 v40, v40, v44
	v_fmamk_f16 v6, v50, 0xbb9c, v49
	v_fmac_f16_e32 v46, -0.5, v41
	v_fmamk_f16 v41, v51, 0x3b9c, v4
	v_fmac_f16_e32 v4, 0xbb9c, v51
	v_fmamk_f16 v7, v56, 0x3b9c, v54
	v_fmac_f16_e32 v6, 0xb8b4, v51
	v_fmac_f16_e32 v49, 0x3b9c, v50
	;; [unrolled: 1-line block ×9, first 2 shown]
	v_add_f16_e32 v37, v39, v40
	v_fmamk_f16 v39, v58, 0xbb9c, v46
	v_fmac_f16_e32 v46, 0x3b9c, v58
	v_fmac_f16_e32 v7, 0x34f2, v43
	;; [unrolled: 1-line block ×6, first 2 shown]
	v_pack_b32_f16 v59, v6, v7
	ds_load_2addr_b32 v[6:7], v117 offset0:122 offset1:247
	global_wb scope:SCOPE_SE
	s_wait_dscnt 0x0
	v_fmac_f16_e32 v39, 0x34f2, v37
	v_fmac_f16_e32 v46, 0x34f2, v37
	s_barrier_signal -1
	s_barrier_wait -1
	global_inv scope:SCOPE_SE
	v_pack_b32_f16 v37, v41, v39
	v_pack_b32_f16 v4, v4, v46
	ds_store_2addr_b32 v87, v48, v59 offset1:125
	v_fmac_f16_e32 v49, 0x34f2, v1
	v_fmac_f16_e32 v54, 0x34f2, v43
	v_sub_f16_e32 v40, v35, v47
	ds_store_2addr_b32 v117, v37, v4 offset0:122 offset1:247
	v_lshrrev_b32_e32 v37, 16, v5
	v_add_f16_e32 v4, v5, v53
	v_pack_b32_f16 v1, v49, v54
	v_add_f16_e32 v43, v36, v38
	v_sub_f16_e32 v41, v36, v38
	v_add_f16_e32 v39, v37, v52
	v_add_f16_e32 v4, v4, v34
	v_sub_f16_e32 v44, v52, v36
	v_sub_f16_e32 v45, v52, v42
	v_add_f16_e32 v46, v52, v42
	v_add_f16_e32 v39, v39, v36
	;; [unrolled: 1-line block ×3, first 2 shown]
	v_sub_f16_e32 v36, v36, v52
	s_delay_alu instid0(VALU_DEP_3) | instskip(NEXT) | instid1(VALU_DEP_3)
	v_add_f16_e32 v39, v39, v38
	v_add_f16_e32 v4, v4, v47
	s_delay_alu instid0(VALU_DEP_2) | instskip(NEXT) | instid1(VALU_DEP_1)
	v_add_f16_e32 v39, v39, v42
	v_pack_b32_f16 v4, v4, v39
	v_add_f16_e32 v39, v53, v47
	ds_store_2addr_b32 v143, v1, v4 offset0:116 offset1:241
	v_sub_f16_e32 v1, v53, v34
	v_sub_f16_e32 v4, v47, v35
	s_delay_alu instid0(VALU_DEP_1) | instskip(SKIP_1) | instid1(VALU_DEP_1)
	v_add_f16_e32 v1, v1, v4
	v_add_f16_e32 v4, v34, v35
	v_fma_f16 v4, -0.5, v4, v5
	v_fmac_f16_e32 v5, -0.5, v39
	v_sub_f16_e32 v39, v34, v53
	v_sub_f16_e32 v34, v34, v35
	s_delay_alu instid0(VALU_DEP_2)
	v_add_f16_e32 v39, v39, v40
	v_sub_f16_e32 v40, v53, v47
	v_sub_f16_e32 v47, v42, v38
	;; [unrolled: 1-line block ×3, first 2 shown]
	v_fma_f16 v42, -0.5, v43, v37
	v_fmac_f16_e32 v37, -0.5, v46
	s_delay_alu instid0(VALU_DEP_4) | instskip(NEXT) | instid1(VALU_DEP_4)
	v_add_f16_e32 v35, v44, v47
	v_add_f16_e32 v36, v36, v38
	v_fmamk_f16 v38, v45, 0xbb9c, v4
	v_fmamk_f16 v43, v40, 0x3b9c, v42
	;; [unrolled: 1-line block ×3, first 2 shown]
	v_fmac_f16_e32 v37, 0x3b9c, v34
	v_fmac_f16_e32 v4, 0x3b9c, v45
	;; [unrolled: 1-line block ×12, first 2 shown]
	v_lshrrev_b32_e32 v34, 16, v6
	v_pack_b32_f16 v38, v38, v43
	v_fmamk_f16 v43, v41, 0x3b9c, v5
	v_fmac_f16_e32 v5, 0xbb9c, v41
	v_fmac_f16_e32 v42, 0x34f2, v35
	v_add_f16_e32 v35, v34, v22
	v_fmac_f16_e32 v44, 0x38b4, v40
	v_fmac_f16_e32 v43, 0xb8b4, v45
	;; [unrolled: 1-line block ×3, first 2 shown]
	v_pack_b32_f16 v1, v4, v42
	v_sub_f16_e32 v4, v33, v31
	v_add_f16_e32 v35, v35, v28
	v_fmac_f16_e32 v43, 0x34f2, v39
	v_fmac_f16_e32 v5, 0x34f2, v39
	;; [unrolled: 1-line block ×3, first 2 shown]
	v_add_f16_e32 v39, v28, v30
	v_add_f16_e32 v35, v35, v30
	v_sub_f16_e32 v36, v22, v32
	v_pack_b32_f16 v5, v5, v37
	v_pack_b32_f16 v43, v43, v44
	v_fma_f16 v39, -0.5, v39, v34
	v_add_f16_e32 v35, v35, v32
	v_sub_f16_e32 v40, v23, v33
	ds_store_2addr_b32 v101, v5, v1 offset0:104 offset1:229
	v_sub_f16_e32 v1, v23, v29
	v_sub_f16_e32 v5, v32, v30
	ds_store_2addr_b32 v129, v38, v43 offset0:110 offset1:235
	v_sub_f16_e32 v38, v28, v30
	v_fmamk_f16 v41, v40, 0x3b9c, v39
	v_add_f16_e32 v1, v1, v4
	v_sub_f16_e32 v4, v22, v28
	v_sub_f16_e32 v42, v29, v31
	v_fmac_f16_e32 v39, 0xbb9c, v40
	s_delay_alu instid0(VALU_DEP_3) | instskip(SKIP_1) | instid1(VALU_DEP_4)
	v_add_f16_e32 v4, v4, v5
	v_add_f16_e32 v5, v6, v23
	v_fmac_f16_e32 v41, 0x38b4, v42
	s_delay_alu instid0(VALU_DEP_4) | instskip(NEXT) | instid1(VALU_DEP_3)
	v_fmac_f16_e32 v39, 0xb8b4, v42
	v_add_f16_e32 v5, v5, v29
	s_delay_alu instid0(VALU_DEP_3) | instskip(NEXT) | instid1(VALU_DEP_3)
	v_fmac_f16_e32 v41, 0x34f2, v4
	v_fmac_f16_e32 v39, 0x34f2, v4
	s_delay_alu instid0(VALU_DEP_3) | instskip(NEXT) | instid1(VALU_DEP_1)
	v_add_f16_e32 v5, v5, v31
	v_add_f16_e32 v5, v5, v33
	s_delay_alu instid0(VALU_DEP_1) | instskip(SKIP_1) | instid1(VALU_DEP_1)
	v_pack_b32_f16 v5, v5, v35
	v_add_f16_e32 v35, v29, v31
	v_fma_f16 v35, -0.5, v35, v6
	s_delay_alu instid0(VALU_DEP_1) | instskip(SKIP_1) | instid1(VALU_DEP_2)
	v_fmamk_f16 v37, v36, 0xbb9c, v35
	v_fmac_f16_e32 v35, 0x3b9c, v36
	v_fmac_f16_e32 v37, 0xb8b4, v38
	s_delay_alu instid0(VALU_DEP_2) | instskip(NEXT) | instid1(VALU_DEP_2)
	v_fmac_f16_e32 v35, 0x38b4, v38
	v_fmac_f16_e32 v37, 0x34f2, v1
	s_delay_alu instid0(VALU_DEP_2) | instskip(NEXT) | instid1(VALU_DEP_2)
	v_fmac_f16_e32 v35, 0x34f2, v1
	v_pack_b32_f16 v37, v37, v41
	ds_store_2addr_b32 v189, v5, v37 offset0:98 offset1:223
	v_sub_f16_e32 v5, v29, v23
	v_add_f16_e32 v23, v23, v33
	v_sub_f16_e32 v29, v31, v33
	v_sub_f16_e32 v31, v18, v19
	;; [unrolled: 1-line block ×3, first 2 shown]
	s_delay_alu instid0(VALU_DEP_4) | instskip(NEXT) | instid1(VALU_DEP_4)
	v_fma_f16 v6, -0.5, v23, v6
	v_add_f16_e32 v5, v5, v29
	v_add_f16_e32 v29, v22, v32
	v_sub_f16_e32 v22, v28, v22
	v_sub_f16_e32 v28, v30, v32
	v_fmamk_f16 v23, v38, 0x3b9c, v6
	v_fmac_f16_e32 v6, 0xbb9c, v38
	v_fmac_f16_e32 v34, -0.5, v29
	v_sub_f16_e32 v29, v16, v20
	v_add_f16_e32 v32, v18, v19
	v_fmac_f16_e32 v23, 0xb8b4, v36
	v_fmac_f16_e32 v6, 0x38b4, v36
	s_delay_alu instid0(VALU_DEP_2) | instskip(NEXT) | instid1(VALU_DEP_2)
	v_fmac_f16_e32 v23, 0x34f2, v5
	v_fmac_f16_e32 v6, 0x34f2, v5
	v_add_f16_e32 v5, v22, v28
	v_fmamk_f16 v22, v42, 0xbb9c, v34
	v_fmac_f16_e32 v34, 0x3b9c, v42
	s_delay_alu instid0(VALU_DEP_2) | instskip(NEXT) | instid1(VALU_DEP_2)
	v_fmac_f16_e32 v22, 0x38b4, v40
	v_fmac_f16_e32 v34, 0xb8b4, v40
	s_delay_alu instid0(VALU_DEP_2) | instskip(NEXT) | instid1(VALU_DEP_2)
	v_fmac_f16_e32 v22, 0x34f2, v5
	v_fmac_f16_e32 v34, 0x34f2, v5
	s_delay_alu instid0(VALU_DEP_2) | instskip(NEXT) | instid1(VALU_DEP_2)
	v_pack_b32_f16 v5, v23, v22
	v_pack_b32_f16 v6, v6, v34
	v_sub_f16_e32 v22, v20, v19
	v_lshrrev_b32_e32 v23, 16, v7
	v_sub_f16_e32 v34, v14, v21
	ds_store_2addr_b32 v120, v5, v6 offset0:92 offset1:217
	v_sub_f16_e32 v5, v17, v14
	v_sub_f16_e32 v6, v15, v21
	v_add_f16_e32 v28, v23, v16
	v_fma_f16 v32, -0.5, v32, v23
	s_delay_alu instid0(VALU_DEP_3) | instskip(SKIP_1) | instid1(VALU_DEP_4)
	v_add_f16_e32 v5, v5, v6
	v_sub_f16_e32 v6, v16, v18
	v_add_f16_e32 v28, v28, v18
	v_sub_f16_e32 v18, v18, v16
	v_add_f16_e32 v16, v16, v20
	v_fmamk_f16 v37, v33, 0x3b9c, v32
	v_add_f16_e32 v6, v6, v22
	v_add_f16_e32 v22, v7, v17
	;; [unrolled: 1-line block ×3, first 2 shown]
	v_fmac_f16_e32 v23, -0.5, v16
	v_sub_f16_e32 v19, v19, v20
	v_fmac_f16_e32 v37, 0x38b4, v34
	v_add_f16_e32 v22, v22, v14
	v_add_f16_e32 v28, v28, v20
	v_sub_f16_e32 v20, v10, v9
	v_fmac_f16_e32 v32, 0xbb9c, v33
	v_fmac_f16_e32 v37, 0x34f2, v6
	v_add_f16_e32 v22, v22, v21
	s_delay_alu instid0(VALU_DEP_3) | instskip(NEXT) | instid1(VALU_DEP_2)
	v_fmac_f16_e32 v32, 0xb8b4, v34
	v_add_f16_e32 v22, v22, v15
	s_delay_alu instid0(VALU_DEP_2) | instskip(NEXT) | instid1(VALU_DEP_2)
	v_fmac_f16_e32 v32, 0x34f2, v6
	v_pack_b32_f16 v22, v22, v28
	v_add_f16_e32 v28, v14, v21
	v_sub_f16_e32 v14, v14, v17
	v_add_f16_e32 v17, v17, v15
	v_sub_f16_e32 v15, v21, v15
	v_add_f16_e32 v21, v10, v9
	v_fma_f16 v28, -0.5, v28, v7
	s_delay_alu instid0(VALU_DEP_4)
	v_fmac_f16_e32 v7, -0.5, v17
	v_fmamk_f16 v17, v34, 0xbb9c, v23
	v_fmac_f16_e32 v23, 0x3b9c, v34
	v_add_f16_e32 v14, v14, v15
	v_add_f16_e32 v15, v18, v19
	v_fmamk_f16 v16, v31, 0x3b9c, v7
	v_fmac_f16_e32 v7, 0xbb9c, v31
	v_fmac_f16_e32 v23, 0xb8b4, v33
	;; [unrolled: 1-line block ×3, first 2 shown]
	v_fmamk_f16 v30, v29, 0xbb9c, v28
	v_fmac_f16_e32 v16, 0xb8b4, v29
	v_fmac_f16_e32 v7, 0x38b4, v29
	;; [unrolled: 1-line block ×4, first 2 shown]
	v_sub_f16_e32 v15, v13, v9
	v_fmac_f16_e32 v16, 0x34f2, v14
	v_fmac_f16_e32 v7, 0x34f2, v14
	;; [unrolled: 1-line block ×3, first 2 shown]
	v_sub_f16_e32 v18, v8, v13
	v_fmac_f16_e32 v28, 0x3b9c, v29
	v_pack_b32_f16 v14, v16, v17
	v_pack_b32_f16 v7, v7, v23
	v_lshrrev_b32_e32 v16, 16, v0
	v_fmac_f16_e32 v30, 0x34f2, v5
	v_sub_f16_e32 v23, v11, v3
	v_fmac_f16_e32 v28, 0x38b4, v31
	ds_store_2addr_b32 v177, v14, v7 offset0:77 offset1:202
	v_sub_f16_e32 v7, v2, v11
	v_sub_f16_e32 v14, v12, v3
	v_add_f16_e32 v17, v16, v8
	v_pack_b32_f16 v30, v30, v37
	v_fma_f16 v21, -0.5, v21, v16
	v_fmac_f16_e32 v28, 0x34f2, v5
	v_add_f16_e32 v7, v7, v14
	v_sub_f16_e32 v14, v8, v10
	v_add_f16_e32 v17, v17, v10
	ds_store_2addr_b32 v179, v22, v30 offset0:83 offset1:208
	v_sub_f16_e32 v22, v2, v12
	v_sub_f16_e32 v10, v10, v8
	v_add_f16_e32 v14, v14, v15
	v_add_f16_e32 v15, v0, v2
	;; [unrolled: 1-line block ×4, first 2 shown]
	v_sub_f16_e32 v9, v9, v13
	v_fmamk_f16 v30, v22, 0x3b9c, v21
	v_add_f16_e32 v15, v15, v11
	v_add_f16_e32 v17, v17, v13
	v_fmac_f16_e32 v16, -0.5, v8
	v_fmac_f16_e32 v21, 0xbb9c, v22
	v_fmac_f16_e32 v30, 0x38b4, v23
	v_add_f16_e32 v15, v15, v3
	v_pack_b32_f16 v1, v28, v32
	s_delay_alu instid0(VALU_DEP_4) | instskip(NEXT) | instid1(VALU_DEP_4)
	v_fmac_f16_e32 v21, 0xb8b4, v23
	v_fmac_f16_e32 v30, 0x34f2, v14
	s_delay_alu instid0(VALU_DEP_4) | instskip(NEXT) | instid1(VALU_DEP_3)
	v_add_f16_e32 v15, v15, v12
	v_fmac_f16_e32 v21, 0x34f2, v14
	s_delay_alu instid0(VALU_DEP_2) | instskip(SKIP_4) | instid1(VALU_DEP_4)
	v_pack_b32_f16 v15, v15, v17
	v_add_f16_e32 v17, v11, v3
	v_sub_f16_e32 v11, v11, v2
	v_add_f16_e32 v2, v2, v12
	v_sub_f16_e32 v3, v3, v12
	v_fma_f16 v17, -0.5, v17, v0
	s_delay_alu instid0(VALU_DEP_3) | instskip(NEXT) | instid1(VALU_DEP_3)
	v_fmac_f16_e32 v0, -0.5, v2
	v_add_f16_e32 v2, v11, v3
	v_add_f16_e32 v3, v10, v9
	v_fmamk_f16 v9, v23, 0xbb9c, v16
	v_fmac_f16_e32 v16, 0x3b9c, v23
	v_fmamk_f16 v8, v20, 0x3b9c, v0
	v_fmac_f16_e32 v0, 0xbb9c, v20
	;; [unrolled: 2-line block ×3, first 2 shown]
	v_fmac_f16_e32 v16, 0xb8b4, v22
	v_fmac_f16_e32 v8, 0xb8b4, v18
	;; [unrolled: 1-line block ×10, first 2 shown]
	s_delay_alu instid0(VALU_DEP_4) | instskip(NEXT) | instid1(VALU_DEP_4)
	v_pack_b32_f16 v2, v8, v9
	v_pack_b32_f16 v0, v0, v16
	s_delay_alu instid0(VALU_DEP_4) | instskip(NEXT) | instid1(VALU_DEP_4)
	v_fmac_f16_e32 v19, 0x34f2, v7
	v_fmac_f16_e32 v17, 0x34f2, v7
	ds_store_2addr_b32 v183, v2, v0 offset0:62 offset1:187
	v_pack_b32_f16 v0, v35, v39
	v_pack_b32_f16 v19, v19, v30
	ds_store_b32 v165, v0 offset:7000
	v_pack_b32_f16 v0, v17, v21
	ds_store_2addr_b32 v182, v15, v19 offset0:68 offset1:193
	ds_store_b32 v172, v1 offset:9500
	ds_store_b32 v173, v0 offset:12000
	global_wb scope:SCOPE_SE
	s_wait_dscnt 0x0
	s_barrier_signal -1
	s_barrier_wait -1
	global_inv scope:SCOPE_SE
	ds_load_2addr_b32 v[0:1], v129 offset0:110 offset1:235
	s_wait_dscnt 0x0
	v_lshrrev_b32_e32 v2, 16, v0
	v_mul_f16_e32 v3, v80, v0
	s_delay_alu instid0(VALU_DEP_2) | instskip(NEXT) | instid1(VALU_DEP_2)
	v_mul_f16_e32 v28, v80, v2
	v_fma_f16 v29, v24, v2, -v3
	ds_load_2addr_b32 v[2:3], v141 offset0:98 offset1:223
	v_fmac_f16_e32 v28, v24, v0
	v_lshrrev_b32_e32 v0, 16, v1
	s_wait_dscnt 0x0
	v_lshrrev_b32_e32 v4, 16, v3
	v_mul_f16_e64 v5, v175, v3
	s_delay_alu instid0(VALU_DEP_2) | instskip(NEXT) | instid1(VALU_DEP_2)
	v_mul_f16_e64 v31, v175, v4
	v_fma_f16 v32, v25, v4, -v5
	ds_load_2addr_b32 v[4:5], v122 offset0:80 offset1:205
	v_fmac_f16_e32 v31, v25, v3
	v_mul_f16_e64 v3, v227, v1
	s_delay_alu instid0(VALU_DEP_1) | instskip(SKIP_3) | instid1(VALU_DEP_2)
	v_fma_f16 v38, v68, v0, -v3
	s_wait_dscnt 0x0
	v_lshrrev_b32_e32 v6, 16, v4
	v_mul_f16_e32 v7, v78, v4
	v_mul_f16_e32 v34, v78, v6
	s_delay_alu instid0(VALU_DEP_2)
	v_fma_f16 v33, v26, v6, -v7
	ds_load_2addr_b32 v[6:7], v139 offset0:68 offset1:193
	v_fmac_f16_e32 v34, v26, v4
	v_lshrrev_b32_e32 v4, 16, v5
	s_wait_dscnt 0x0
	v_lshrrev_b32_e32 v8, 16, v7
	v_mul_f16_e64 v9, v178, v7
	v_mul_f16_e64 v43, v166, v6
	s_delay_alu instid0(VALU_DEP_3) | instskip(NEXT) | instid1(VALU_DEP_3)
	v_mul_f16_e64 v35, v178, v8
	v_fma_f16 v36, v27, v8, -v9
	v_mul_f16_e64 v8, v227, v0
	v_mul_f16_e64 v9, v223, v4
	s_delay_alu instid0(VALU_DEP_4) | instskip(SKIP_1) | instid1(VALU_DEP_4)
	v_fmac_f16_e32 v35, v27, v7
	v_mul_f16_e64 v7, v223, v5
	v_fmac_f16_e32 v8, v68, v1
	ds_load_2addr_b32 v[0:1], v124 offset0:92 offset1:217
	v_fmac_f16_e32 v9, v70, v5
	v_sub_f16_e32 v51, v28, v35
	v_fma_f16 v12, v70, v4, -v7
	s_wait_dscnt 0x0
	v_lshrrev_b32_e32 v3, 16, v0
	v_mul_f16_e64 v5, v224, v0
	s_delay_alu instid0(VALU_DEP_2) | instskip(NEXT) | instid1(VALU_DEP_2)
	v_mul_f16_e64 v10, v224, v3
	v_fma_f16 v11, v69, v3, -v5
	ds_load_2addr_b32 v[3:4], v118 offset0:62 offset1:187
	v_fmac_f16_e32 v10, v69, v0
	s_wait_dscnt 0x0
	v_lshrrev_b32_e32 v5, 16, v3
	v_mul_f16_e64 v7, v222, v3
	v_mul_f16_e64 v20, v230, v4
	s_delay_alu instid0(VALU_DEP_3) | instskip(NEXT) | instid1(VALU_DEP_3)
	v_mul_f16_e64 v13, v222, v5
	v_fma_f16 v14, v71, v5, -v7
	v_mul_f16_e64 v5, v236, v1
	v_lshrrev_b32_e32 v7, 16, v4
	s_delay_alu instid0(VALU_DEP_4) | instskip(SKIP_1) | instid1(VALU_DEP_3)
	v_fmac_f16_e32 v13, v71, v3
	v_lshrrev_b32_e32 v3, 16, v1
	v_mul_f16_e64 v16, v230, v7
	v_fma_f16 v21, v67, v7, -v20
	s_delay_alu instid0(VALU_DEP_3) | instskip(NEXT) | instid1(VALU_DEP_3)
	v_mul_f16_e64 v15, v236, v3
	v_fmac_f16_e32 v16, v67, v4
	s_delay_alu instid0(VALU_DEP_2) | instskip(SKIP_4) | instid1(VALU_DEP_2)
	v_fmac_f16_e32 v15, v65, v1
	ds_load_2addr_b32 v[0:1], v101 offset0:104 offset1:229
	s_wait_dscnt 0x0
	v_lshrrev_b32_e32 v4, 16, v0
	v_mul_f16_e64 v17, v234, v0
	v_mul_f16_e64 v30, v234, v4
	s_delay_alu instid0(VALU_DEP_2)
	v_fma_f16 v27, v64, v4, -v17
	v_fma_f16 v17, v65, v3, -v5
	ds_load_2addr_b32 v[3:4], v96 offset0:74 offset1:199
	v_fmac_f16_e32 v30, v64, v0
	v_lshrrev_b32_e32 v0, 16, v1
	v_sub_f16_e32 v64, v27, v21
	s_delay_alu instid0(VALU_DEP_2) | instskip(NEXT) | instid1(VALU_DEP_1)
	v_mul_f16_e64 v37, v240, v0
	v_fmac_f16_e32 v37, v72, v1
	s_wait_dscnt 0x0
	v_lshrrev_b32_e32 v5, 16, v3
	v_mul_f16_e64 v19, v232, v3
	v_mul_f16_e64 v7, v239, v4
	s_delay_alu instid0(VALU_DEP_3) | instskip(NEXT) | instid1(VALU_DEP_3)
	v_mul_f16_e64 v18, v232, v5
	v_fma_f16 v19, v66, v5, -v19
	v_lshrrev_b32_e32 v5, 16, v4
	s_delay_alu instid0(VALU_DEP_3) | instskip(SKIP_1) | instid1(VALU_DEP_3)
	v_fmac_f16_e32 v18, v66, v3
	v_mul_f16_e64 v3, v240, v1
	v_mul_f16_e64 v20, v239, v5
	v_fma_f16 v22, v74, v5, -v7
	v_lshrrev_b32_e32 v7, 16, v6
	v_sub_f16_e32 v61, v15, v18
	v_fma_f16 v39, v72, v0, -v3
	ds_load_2addr_b32 v[0:1], v142 offset0:86 offset1:211
	v_fmac_f16_e32 v20, v74, v4
	v_mul_f16_e64 v42, v166, v7
	v_fma_f16 v43, v84, v7, -v43
	v_sub_f16_e32 v66, v30, v16
	s_delay_alu instid0(VALU_DEP_3) | instskip(SKIP_3) | instid1(VALU_DEP_2)
	v_fmac_f16_e32 v42, v84, v6
	s_wait_dscnt 0x0
	v_lshrrev_b32_e32 v3, 16, v0
	v_mul_f16_e64 v4, v238, v0
	v_mul_f16_e64 v23, v238, v3
	s_delay_alu instid0(VALU_DEP_2)
	v_fma_f16 v24, v73, v3, -v4
	ds_load_b32 v3, v87 offset:12000
	v_fmac_f16_e32 v23, v73, v0
	s_wait_dscnt 0x0
	v_lshrrev_b32_e32 v4, 16, v3
	v_mul_f16_e32 v5, v79, v3
	s_delay_alu instid0(VALU_DEP_2) | instskip(NEXT) | instid1(VALU_DEP_2)
	v_mul_f16_e32 v25, v79, v4
	v_fma_f16 v26, v75, v4, -v5
	v_mul_f16_e64 v4, v164, v2
	v_mul_f16_e64 v5, v169, v1
	s_delay_alu instid0(VALU_DEP_4)
	v_fmac_f16_e32 v25, v75, v3
	v_lshrrev_b32_e32 v3, 16, v2
	v_add_f16_e32 v59, v39, v26
	v_sub_f16_e32 v60, v22, v26
	v_sub_f16_e32 v72, v39, v26
	;; [unrolled: 1-line block ×3, first 2 shown]
	v_mul_f16_e64 v40, v164, v3
	v_fma_f16 v46, v82, v3, -v4
	s_delay_alu instid0(VALU_DEP_2) | instskip(SKIP_1) | instid1(VALU_DEP_1)
	v_fmac_f16_e32 v40, v82, v2
	v_lshrrev_b32_e32 v2, 16, v1
	v_mul_f16_e64 v41, v169, v2
	v_fma_f16 v47, v83, v2, -v5
	s_delay_alu instid0(VALU_DEP_2)
	v_fmac_f16_e32 v41, v83, v1
	ds_load_2addr_b32 v[0:1], v143 offset0:116 offset1:241
	v_sub_f16_e32 v7, v46, v47
	v_sub_f16_e32 v2, v42, v41
	v_add_f16_e32 v3, v40, v41
	s_wait_dscnt 0x0
	v_lshrrev_b32_e32 v6, 16, v1
	v_mul_f16_e64 v44, v168, v1
	s_delay_alu instid0(VALU_DEP_2) | instskip(NEXT) | instid1(VALU_DEP_2)
	v_mul_f16_e64 v45, v168, v6
	v_fma_f16 v44, v81, v6, -v44
	s_delay_alu instid0(VALU_DEP_2) | instskip(NEXT) | instid1(VALU_DEP_2)
	v_fmac_f16_e32 v45, v81, v1
	v_sub_f16_e32 v50, v44, v43
	s_delay_alu instid0(VALU_DEP_2) | instskip(SKIP_1) | instid1(VALU_DEP_2)
	v_sub_f16_e32 v1, v45, v40
	v_add_f16_e32 v4, v45, v42
	v_add_f16_e32 v48, v1, v2
	v_sub_f16_e32 v1, v40, v45
	v_sub_f16_e32 v2, v41, v42
	s_delay_alu instid0(VALU_DEP_1) | instskip(SKIP_4) | instid1(VALU_DEP_2)
	v_add_f16_e32 v49, v1, v2
	ds_load_2addr_b32 v[1:2], v87 offset1:125
	s_wait_dscnt 0x0
	v_fma_f16 v3, -0.5, v3, v1
	v_fma_f16 v4, -0.5, v4, v1
	v_fmamk_f16 v5, v50, 0xbb9c, v3
	v_fmac_f16_e32 v3, 0x3b9c, v50
	s_delay_alu instid0(VALU_DEP_3) | instskip(SKIP_1) | instid1(VALU_DEP_4)
	v_fmamk_f16 v6, v7, 0x3b9c, v4
	v_fmac_f16_e32 v4, 0xbb9c, v7
	v_fmac_f16_e32 v5, 0xb8b4, v7
	s_delay_alu instid0(VALU_DEP_4)
	v_fmac_f16_e32 v3, 0x38b4, v7
	v_add_f16_e32 v7, v1, v45
	v_lshrrev_b32_e32 v1, 16, v1
	v_fmac_f16_e32 v4, 0x38b4, v50
	v_fmac_f16_e32 v5, 0x34f2, v48
	;; [unrolled: 1-line block ×3, first 2 shown]
	v_add_f16_e32 v7, v7, v40
	v_sub_f16_e32 v40, v40, v41
	v_add_f16_e32 v48, v1, v44
	v_fmac_f16_e32 v4, 0x34f2, v49
	v_fmac_f16_e32 v6, 0xb8b4, v50
	v_add_f16_e32 v7, v7, v41
	v_add_f16_e32 v41, v46, v47
	v_sub_f16_e32 v50, v29, v36
	s_delay_alu instid0(VALU_DEP_4) | instskip(NEXT) | instid1(VALU_DEP_4)
	v_fmac_f16_e32 v6, 0x34f2, v49
	v_add_f16_e32 v7, v7, v42
	v_sub_f16_e32 v42, v45, v42
	v_add_f16_e32 v45, v44, v43
	v_fma_f16 v41, -0.5, v41, v1
	v_sub_f16_e32 v49, v10, v9
	s_delay_alu instid0(VALU_DEP_3) | instskip(SKIP_4) | instid1(VALU_DEP_4)
	v_fmac_f16_e32 v1, -0.5, v45
	v_add_f16_e32 v45, v48, v46
	v_sub_f16_e32 v48, v44, v46
	v_sub_f16_e32 v44, v46, v44
	v_sub_f16_e32 v46, v43, v47
	v_add_f16_e32 v45, v45, v47
	v_sub_f16_e32 v47, v47, v43
	s_delay_alu instid0(VALU_DEP_2) | instskip(NEXT) | instid1(VALU_DEP_4)
	v_add_f16_e32 v43, v45, v43
	v_add_f16_e32 v45, v48, v46
	v_fmamk_f16 v46, v40, 0xbb9c, v1
	v_fmac_f16_e32 v1, 0x3b9c, v40
	v_add_f16_e32 v44, v44, v47
	v_fmamk_f16 v47, v42, 0x3b9c, v41
	v_fmac_f16_e32 v41, 0xbb9c, v42
	v_fmac_f16_e32 v46, 0x38b4, v42
	;; [unrolled: 1-line block ×3, first 2 shown]
	v_pack_b32_f16 v7, v7, v43
	v_fmac_f16_e32 v47, 0x38b4, v40
	v_fmac_f16_e32 v41, 0xb8b4, v40
	v_fmac_f16_e32 v46, 0x34f2, v44
	v_fmac_f16_e32 v1, 0x34f2, v44
	v_sub_f16_e32 v43, v12, v14
	v_fmac_f16_e32 v47, 0x34f2, v45
	v_fmac_f16_e32 v41, 0x34f2, v45
	v_pack_b32_f16 v6, v6, v46
	v_pack_b32_f16 v4, v4, v1
	v_add_f16_e32 v1, v2, v28
	v_pack_b32_f16 v5, v5, v47
	v_pack_b32_f16 v3, v3, v41
	ds_store_b32 v87, v5 offset:2500
	ds_store_b32 v87, v6 offset:5000
	ds_store_b32 v87, v4 offset:7500
	ds_store_b32 v87, v3 offset:10000
	v_add_f16_e32 v40, v1, v31
	v_lshrrev_b32_e32 v1, 16, v2
	v_add_f16_e32 v5, v31, v34
	v_sub_f16_e32 v6, v34, v35
	ds_load_2addr_b32 v[3:4], v117 offset0:122 offset1:247
	v_add_f16_e32 v40, v40, v34
	v_add_f16_e32 v41, v1, v29
	v_fma_f16 v53, -0.5, v5, v2
	v_add_f16_e32 v5, v28, v35
	v_sub_f16_e32 v44, v32, v33
	v_add_f16_e32 v40, v40, v35
	v_add_f16_e32 v41, v41, v32
	v_sub_f16_e32 v46, v31, v34
	v_fmac_f16_e32 v2, -0.5, v5
	v_sub_f16_e32 v5, v31, v28
	v_sub_f16_e32 v47, v11, v12
	v_add_f16_e32 v41, v41, v33
	v_sub_f16_e32 v28, v28, v31
	v_sub_f16_e32 v31, v35, v34
	;; [unrolled: 1-line block ×3, first 2 shown]
	s_delay_alu instid0(VALU_DEP_4) | instskip(SKIP_2) | instid1(VALU_DEP_2)
	v_add_f16_e32 v41, v41, v36
	s_wait_dscnt 0x0
	v_add_f16_e32 v58, v4, v30
	v_pack_b32_f16 v40, v40, v41
	v_add_f16_e32 v41, v38, v14
	ds_store_2addr_b32 v87, v7, v40 offset1:125
	v_add_f16_e32 v40, v5, v6
	v_add_f16_e32 v5, v32, v33
	v_sub_f16_e32 v6, v33, v36
	v_sub_f16_e32 v33, v36, v33
	s_delay_alu instid0(VALU_DEP_3) | instskip(SKIP_3) | instid1(VALU_DEP_3)
	v_fma_f16 v54, -0.5, v5, v1
	v_add_f16_e32 v5, v29, v36
	v_fmamk_f16 v36, v50, 0xbb9c, v53
	v_fmac_f16_e32 v53, 0x3b9c, v50
	v_fmac_f16_e32 v1, -0.5, v5
	v_sub_f16_e32 v5, v32, v29
	v_sub_f16_e32 v29, v29, v32
	v_add_f16_e32 v32, v28, v31
	v_sub_f16_e32 v28, v8, v10
	v_fmamk_f16 v45, v46, 0xbb9c, v1
	v_add_f16_e32 v42, v5, v6
	v_sub_f16_e32 v5, v10, v8
	v_sub_f16_e32 v6, v9, v13
	v_add_f16_e32 v33, v29, v33
	v_fmac_f16_e32 v45, 0x38b4, v51
	v_sub_f16_e32 v29, v13, v9
	v_fmac_f16_e32 v53, 0x38b4, v44
	v_add_f16_e32 v7, v5, v6
	v_lshrrev_b32_e32 v6, 16, v3
	v_add_f16_e32 v5, v11, v12
	v_fmac_f16_e32 v45, 0x34f2, v42
	v_add_f16_e32 v34, v28, v29
	v_sub_f16_e32 v28, v38, v11
	v_sub_f16_e32 v29, v14, v12
	v_fma_f16 v55, -0.5, v5, v6
	v_add_f16_e32 v5, v6, v38
	v_fmac_f16_e32 v6, -0.5, v41
	v_sub_f16_e32 v41, v11, v38
	v_fmac_f16_e32 v53, 0x34f2, v32
	v_sub_f16_e32 v31, v18, v16
	v_fmac_f16_e32 v1, 0x3b9c, v46
	v_fmamk_f16 v57, v49, 0xbb9c, v6
	v_add_f16_e32 v41, v41, v43
	v_fmamk_f16 v43, v44, 0x3b9c, v2
	v_fmac_f16_e32 v2, 0xbb9c, v44
	v_fmac_f16_e32 v1, 0xb8b4, v51
	;; [unrolled: 1-line block ×13, first 2 shown]
	v_lshrrev_b32_e32 v32, 16, v126
	v_pack_b32_f16 v52, v43, v45
	v_add_f16_e32 v43, v8, v13
	v_sub_f16_e32 v45, v38, v14
	v_add_f16_e32 v38, v28, v29
	v_add_f16_e32 v29, v10, v9
	v_pack_b32_f16 v1, v2, v1
	v_fma_f16 v43, -0.5, v43, v3
	v_fmac_f16_e32 v6, 0x34f2, v41
	s_delay_alu instid0(VALU_DEP_4) | instskip(NEXT) | instid1(VALU_DEP_3)
	v_fma_f16 v29, -0.5, v29, v3
	v_fmamk_f16 v56, v47, 0x3b9c, v43
	v_fmac_f16_e32 v43, 0xbb9c, v47
	s_delay_alu instid0(VALU_DEP_2) | instskip(NEXT) | instid1(VALU_DEP_2)
	v_fmac_f16_e32 v56, 0xb8b4, v45
	v_fmac_f16_e32 v43, 0x38b4, v45
	s_delay_alu instid0(VALU_DEP_2) | instskip(NEXT) | instid1(VALU_DEP_2)
	v_fmac_f16_e32 v56, 0x34f2, v7
	v_fmac_f16_e32 v43, 0x34f2, v7
	s_delay_alu instid0(VALU_DEP_2)
	v_pack_b32_f16 v56, v56, v57
	v_fmamk_f16 v57, v48, 0x3b9c, v55
	v_fmac_f16_e32 v55, 0xbb9c, v48
	ds_store_2addr_b32 v147, v52, v56 offset0:95 offset1:220
	v_fmamk_f16 v52, v51, 0x3b9c, v54
	v_fmac_f16_e32 v54, 0xbb9c, v51
	v_fmamk_f16 v56, v45, 0xbb9c, v29
	v_fmac_f16_e32 v29, 0x3b9c, v45
	v_fmac_f16_e32 v55, 0xb8b4, v49
	;; [unrolled: 1-line block ×13, first 2 shown]
	v_pack_b32_f16 v28, v53, v54
	v_lshrrev_b32_e32 v53, 16, v0
	v_pack_b32_f16 v29, v29, v55
	v_sub_f16_e32 v55, v20, v25
	v_pack_b32_f16 v2, v36, v52
	ds_store_2addr_b32 v130, v28, v29 offset0:65 offset1:190
	v_add_f16_e32 v28, v15, v18
	v_lshrrev_b32_e32 v29, 16, v4
	s_delay_alu instid0(VALU_DEP_2) | instskip(SKIP_1) | instid1(VALU_DEP_3)
	v_fma_f16 v67, -0.5, v28, v4
	v_add_f16_e32 v28, v30, v16
	v_add_f16_e32 v62, v29, v27
	s_delay_alu instid0(VALU_DEP_2) | instskip(SKIP_2) | instid1(VALU_DEP_2)
	v_fmac_f16_e32 v4, -0.5, v28
	v_sub_f16_e32 v28, v15, v30
	v_sub_f16_e32 v30, v30, v15
	v_add_f16_e32 v35, v28, v31
	v_add_f16_e32 v28, v17, v19
	v_sub_f16_e32 v31, v19, v21
	s_delay_alu instid0(VALU_DEP_2) | instskip(SKIP_1) | instid1(VALU_DEP_2)
	v_fma_f16 v68, -0.5, v28, v29
	v_add_f16_e32 v28, v27, v21
	v_fmamk_f16 v76, v66, 0x3b9c, v68
	s_delay_alu instid0(VALU_DEP_2)
	v_fmac_f16_e32 v29, -0.5, v28
	v_sub_f16_e32 v28, v17, v27
	v_sub_f16_e32 v27, v27, v17
	v_fmac_f16_e32 v68, 0xbb9c, v66
	v_fmac_f16_e32 v76, 0x38b4, v61
	v_fmamk_f16 v65, v61, 0xbb9c, v29
	v_add_f16_e32 v54, v28, v31
	v_add_f16_e32 v28, v23, v20
	;; [unrolled: 1-line block ×3, first 2 shown]
	v_fmac_f16_e32 v68, 0xb8b4, v61
	v_fmac_f16_e32 v65, 0x38b4, v66
	;; [unrolled: 1-line block ×3, first 2 shown]
	v_fma_f16 v69, -0.5, v28, v0
	v_add_f16_e32 v28, v0, v37
	v_fmac_f16_e32 v0, -0.5, v31
	v_sub_f16_e32 v31, v23, v37
	v_fmac_f16_e32 v65, 0x34f2, v54
	v_fmamk_f16 v77, v72, 0xbb9c, v69
	v_fmac_f16_e32 v69, 0x3b9c, v72
	v_fmac_f16_e32 v29, 0xb8b4, v66
	v_add_f16_e32 v55, v31, v55
	v_add_f16_e32 v31, v24, v22
	s_delay_alu instid0(VALU_DEP_3) | instskip(NEXT) | instid1(VALU_DEP_2)
	v_fmac_f16_e32 v29, 0x34f2, v54
	v_fma_f16 v70, -0.5, v31, v53
	v_add_f16_e32 v31, v53, v39
	v_fmac_f16_e32 v53, -0.5, v59
	v_sub_f16_e32 v59, v24, v39
	s_delay_alu instid0(VALU_DEP_4) | instskip(SKIP_1) | instid1(VALU_DEP_3)
	v_fmamk_f16 v78, v74, 0x3b9c, v70
	v_fmac_f16_e32 v70, 0xbb9c, v74
	v_add_f16_e32 v60, v59, v60
	v_sub_f16_e32 v59, v17, v19
	s_delay_alu instid0(VALU_DEP_1) | instskip(SKIP_1) | instid1(VALU_DEP_2)
	v_fmamk_f16 v63, v59, 0x3b9c, v4
	v_fmac_f16_e32 v4, 0xbb9c, v59
	v_fmac_f16_e32 v63, 0xb8b4, v64
	s_delay_alu instid0(VALU_DEP_2) | instskip(NEXT) | instid1(VALU_DEP_2)
	v_fmac_f16_e32 v4, 0x38b4, v64
	v_fmac_f16_e32 v63, 0x34f2, v35
	s_delay_alu instid0(VALU_DEP_2) | instskip(NEXT) | instid1(VALU_DEP_2)
	v_fmac_f16_e32 v4, 0x34f2, v35
	v_pack_b32_f16 v71, v63, v65
	v_sub_f16_e32 v63, v24, v22
	v_sub_f16_e32 v65, v23, v20
	s_delay_alu instid0(VALU_DEP_2) | instskip(NEXT) | instid1(VALU_DEP_2)
	v_fmamk_f16 v73, v63, 0x3b9c, v0
	v_fmamk_f16 v75, v65, 0xbb9c, v53
	v_fmac_f16_e32 v69, 0x38b4, v63
	v_fmac_f16_e32 v70, 0xb8b4, v65
	;; [unrolled: 1-line block ×12, first 2 shown]
	s_delay_alu instid0(VALU_DEP_3)
	v_pack_b32_f16 v73, v73, v75
	v_fmamk_f16 v75, v64, 0xbb9c, v67
	v_fmac_f16_e32 v67, 0x3b9c, v64
	v_fmac_f16_e32 v0, 0x34f2, v55
	;; [unrolled: 1-line block ×3, first 2 shown]
	ds_store_2addr_b32 v134, v71, v73 offset0:89 offset1:214
	v_sub_f16_e32 v71, v16, v18
	v_fmac_f16_e32 v67, 0x38b4, v59
	v_fmac_f16_e32 v75, 0xb8b4, v59
	v_pack_b32_f16 v0, v0, v53
	s_delay_alu instid0(VALU_DEP_4) | instskip(SKIP_1) | instid1(VALU_DEP_2)
	v_add_f16_e32 v30, v30, v71
	v_sub_f16_e32 v71, v21, v19
	v_fmac_f16_e32 v67, 0x34f2, v30
	s_delay_alu instid0(VALU_DEP_2) | instskip(SKIP_3) | instid1(VALU_DEP_4)
	v_add_f16_e32 v73, v27, v71
	v_sub_f16_e32 v27, v37, v23
	v_sub_f16_e32 v37, v25, v20
	v_fmac_f16_e32 v75, 0x34f2, v30
	v_fmac_f16_e32 v68, 0x34f2, v73
	;; [unrolled: 1-line block ×3, first 2 shown]
	s_delay_alu instid0(VALU_DEP_4) | instskip(SKIP_2) | instid1(VALU_DEP_3)
	v_add_f16_e32 v37, v27, v37
	v_sub_f16_e32 v27, v39, v24
	v_sub_f16_e32 v39, v26, v22
	v_fmac_f16_e32 v69, 0x34f2, v37
	v_fmac_f16_e32 v77, 0x34f2, v37
	s_delay_alu instid0(VALU_DEP_3) | instskip(SKIP_1) | instid1(VALU_DEP_2)
	v_add_f16_e32 v39, v27, v39
	v_pack_b32_f16 v27, v67, v68
	v_fmac_f16_e32 v70, 0x34f2, v39
	v_fmac_f16_e32 v78, 0x34f2, v39
	s_delay_alu instid0(VALU_DEP_2) | instskip(SKIP_2) | instid1(VALU_DEP_1)
	v_pack_b32_f16 v67, v69, v70
	ds_store_2addr_b32 v127, v27, v67 offset0:59 offset1:184
	v_mad_co_u64_u32 v[67:68], null, s10, v97, 0
	v_mov_b32_e32 v27, v68
	s_delay_alu instid0(VALU_DEP_1) | instskip(SKIP_2) | instid1(VALU_DEP_2)
	v_mad_co_u64_u32 v[68:69], null, s11, v97, v[27:28]
	v_mad_co_u64_u32 v[69:70], null, s8, v138, 0
	s_mul_u64 s[10:11], s[8:9], 0x9c4
	v_lshlrev_b64_e32 v[67:68], 2, v[67:68]
	s_delay_alu instid0(VALU_DEP_2) | instskip(NEXT) | instid1(VALU_DEP_1)
	v_mov_b32_e32 v27, v70
	v_mad_co_u64_u32 v[70:71], null, s9, v138, v[27:28]
	s_delay_alu instid0(VALU_DEP_3) | instskip(SKIP_1) | instid1(VALU_DEP_4)
	v_add_co_u32 v27, vcc_lo, s0, v67
	s_wait_alu 0xfffd
	v_add_co_ci_u32_e32 v71, vcc_lo, s1, v68, vcc_lo
	s_mul_u64 s[8:9], s[8:9], s[12:13]
	s_delay_alu instid0(VALU_DEP_3) | instskip(NEXT) | instid1(VALU_DEP_1)
	v_lshlrev_b64_e32 v[67:68], 2, v[69:70]
	v_add_co_u32 v67, vcc_lo, v27, v67
	v_pack_b32_f16 v27, v56, v57
	s_wait_alu 0xfffd
	s_delay_alu instid0(VALU_DEP_3)
	v_add_co_ci_u32_e32 v68, vcc_lo, v71, v68, vcc_lo
	ds_store_2addr_b32 v129, v2, v27 offset0:110 offset1:235
	v_pack_b32_f16 v2, v43, v6
	ds_store_2addr_b32 v122, v1, v2 offset0:80 offset1:205
	v_add_f16_e32 v1, v3, v8
	v_add_f16_e32 v2, v5, v11
	;; [unrolled: 1-line block ×4, first 2 shown]
	s_delay_alu instid0(VALU_DEP_4) | instskip(NEXT) | instid1(VALU_DEP_4)
	v_add_f16_e32 v1, v1, v10
	v_add_f16_e32 v2, v2, v12
	s_delay_alu instid0(VALU_DEP_4) | instskip(NEXT) | instid1(VALU_DEP_4)
	v_add_f16_e32 v3, v3, v18
	v_add_f16_e32 v5, v5, v19
	;; [unrolled: 3-line block ×4, first 2 shown]
	s_delay_alu instid0(VALU_DEP_4) | instskip(NEXT) | instid1(VALU_DEP_1)
	v_add_f16_e32 v1, v1, v13
	v_pack_b32_f16 v1, v1, v2
	s_delay_alu instid0(VALU_DEP_3)
	v_pack_b32_f16 v2, v3, v5
	v_pack_b32_f16 v3, v77, v78
	ds_store_2addr_b32 v117, v1, v2 offset0:122 offset1:247
	v_pack_b32_f16 v2, v75, v76
	v_pack_b32_f16 v1, v4, v29
	ds_store_2addr_b32 v101, v2, v3 offset0:104 offset1:229
	ds_store_2addr_b32 v96, v1, v0 offset0:74 offset1:199
	v_add_f16_e32 v0, v28, v23
	v_add_f16_e32 v1, v31, v24
	v_lshrrev_b32_e32 v23, 16, v131
	v_lshrrev_b32_e32 v31, 16, v121
	s_delay_alu instid0(VALU_DEP_4) | instskip(NEXT) | instid1(VALU_DEP_4)
	v_add_f16_e32 v0, v0, v20
	v_add_f16_e32 v1, v1, v22
	s_delay_alu instid0(VALU_DEP_2) | instskip(NEXT) | instid1(VALU_DEP_2)
	v_add_f16_e32 v0, v0, v25
	v_add_f16_e32 v1, v1, v26
	v_lshrrev_b32_e32 v26, 16, v128
	s_delay_alu instid0(VALU_DEP_2)
	v_pack_b32_f16 v0, v0, v1
	ds_store_b32 v87, v0 offset:2000
	global_wb scope:SCOPE_SE
	s_wait_dscnt 0x0
	s_barrier_signal -1
	s_barrier_wait -1
	global_inv scope:SCOPE_SE
	ds_load_2addr_b32 v[10:11], v87 offset1:125
	s_wait_dscnt 0x0
	v_lshrrev_b32_e32 v7, 16, v10
	v_mul_f16_e64 v0, v140, v10
	v_mul_f16_e64 v19, v137, v11
	s_delay_alu instid0(VALU_DEP_2) | instskip(NEXT) | instid1(VALU_DEP_1)
	v_fma_f16 v0, v135, v7, -v0
	v_cvt_f32_f16_e32 v0, v0
	s_delay_alu instid0(VALU_DEP_1) | instskip(NEXT) | instid1(VALU_DEP_1)
	v_cvt_f64_f32_e32 v[0:1], v0
	v_mul_f64_e32 v[0:1], s[14:15], v[0:1]
	s_delay_alu instid0(VALU_DEP_1) | instskip(SKIP_3) | instid1(VALU_DEP_4)
	v_and_or_b32 v0, 0x1ff, v1, v0
	v_lshrrev_b32_e32 v2, 8, v1
	v_bfe_u32 v9, v1, 20, 11
	v_lshrrev_b32_e32 v1, 16, v1
	v_cmp_ne_u32_e32 vcc_lo, 0, v0
	s_wait_alu 0xfffd
	v_cndmask_b32_e64 v0, 0, 1, vcc_lo
	s_delay_alu instid0(VALU_DEP_1) | instskip(SKIP_1) | instid1(VALU_DEP_2)
	v_and_or_b32 v0, 0xffe, v2, v0
	v_sub_nc_u32_e32 v2, 0x3f1, v9
	v_or_b32_e32 v3, 0x1000, v0
	s_delay_alu instid0(VALU_DEP_2) | instskip(NEXT) | instid1(VALU_DEP_1)
	v_med3_i32 v2, v2, 0, 13
	v_lshrrev_b32_e32 v12, v2, v3
	s_delay_alu instid0(VALU_DEP_1) | instskip(NEXT) | instid1(VALU_DEP_1)
	v_lshlrev_b32_e32 v2, v2, v12
	v_cmp_ne_u32_e64 s0, v2, v3
	ds_load_2addr_b32 v[2:3], v143 offset0:116 offset1:241
	s_wait_dscnt 0x0
	v_lshrrev_b32_e32 v16, 16, v3
	v_mul_f16_e32 v4, v23, v3
	s_delay_alu instid0(VALU_DEP_1) | instskip(NEXT) | instid1(VALU_DEP_1)
	v_fma_f16 v4, v131, v16, -v4
	v_cvt_f32_f16_e32 v4, v4
	s_delay_alu instid0(VALU_DEP_1) | instskip(NEXT) | instid1(VALU_DEP_1)
	v_cvt_f64_f32_e32 v[4:5], v4
	v_mul_f64_e32 v[4:5], s[14:15], v[4:5]
	s_delay_alu instid0(VALU_DEP_1) | instskip(SKIP_3) | instid1(VALU_DEP_4)
	v_and_or_b32 v4, 0x1ff, v5, v4
	v_lshrrev_b32_e32 v6, 8, v5
	v_bfe_u32 v14, v5, 20, 11
	v_lshrrev_b32_e32 v5, 16, v5
	v_cmp_ne_u32_e32 vcc_lo, 0, v4
	s_wait_alu 0xfffd
	v_cndmask_b32_e64 v4, 0, 1, vcc_lo
	s_delay_alu instid0(VALU_DEP_1) | instskip(SKIP_1) | instid1(VALU_DEP_2)
	v_and_or_b32 v6, 0xffe, v6, v4
	v_sub_nc_u32_e32 v4, 0x3f1, v14
	v_or_b32_e32 v8, 0x1000, v6
	s_delay_alu instid0(VALU_DEP_2) | instskip(NEXT) | instid1(VALU_DEP_1)
	v_med3_i32 v4, v4, 0, 13
	v_lshrrev_b32_e32 v17, v4, v8
	s_delay_alu instid0(VALU_DEP_1) | instskip(NEXT) | instid1(VALU_DEP_1)
	v_lshlrev_b32_e32 v4, v4, v17
	v_cmp_ne_u32_e32 vcc_lo, v4, v8
	v_mul_f16_e64 v4, v140, v7
	s_delay_alu instid0(VALU_DEP_1) | instskip(NEXT) | instid1(VALU_DEP_1)
	v_fmac_f16_e64 v4, v135, v10
	v_cvt_f32_f16_e32 v4, v4
	s_delay_alu instid0(VALU_DEP_1) | instskip(NEXT) | instid1(VALU_DEP_1)
	v_cvt_f64_f32_e32 v[7:8], v4
	v_mul_f64_e32 v[7:8], s[14:15], v[7:8]
	s_delay_alu instid0(VALU_DEP_1) | instskip(SKIP_1) | instid1(VALU_DEP_2)
	v_and_or_b32 v4, 0x1ff, v8, v7
	v_lshrrev_b32_e32 v7, 8, v8
	v_cmp_ne_u32_e64 s1, 0, v4
	s_wait_alu 0xf1ff
	s_delay_alu instid0(VALU_DEP_1) | instskip(NEXT) | instid1(VALU_DEP_1)
	v_cndmask_b32_e64 v4, 0, 1, s1
	v_and_or_b32 v4, 0xffe, v7, v4
	v_bfe_u32 v7, v8, 20, 11
	v_lshrrev_b32_e32 v8, 16, v8
	s_delay_alu instid0(VALU_DEP_3) | instskip(NEXT) | instid1(VALU_DEP_3)
	v_or_b32_e32 v13, 0x1000, v4
	v_sub_nc_u32_e32 v10, 0x3f1, v7
	v_add_nc_u32_e32 v7, 0xfffffc10, v7
	s_delay_alu instid0(VALU_DEP_2) | instskip(NEXT) | instid1(VALU_DEP_1)
	v_med3_i32 v10, v10, 0, 13
	v_lshrrev_b32_e32 v15, v10, v13
	s_delay_alu instid0(VALU_DEP_1) | instskip(NEXT) | instid1(VALU_DEP_1)
	v_lshlrev_b32_e32 v10, v10, v15
	v_cmp_ne_u32_e64 s1, v10, v13
	v_lshl_or_b32 v13, v7, 12, v4
	s_wait_alu 0xf1ff
	s_delay_alu instid0(VALU_DEP_2) | instskip(SKIP_1) | instid1(VALU_DEP_2)
	v_cndmask_b32_e64 v10, 0, 1, s1
	v_cmp_gt_i32_e64 s1, 1, v7
	v_or_b32_e32 v10, v15, v10
	s_wait_alu 0xf1ff
	s_delay_alu instid0(VALU_DEP_1) | instskip(NEXT) | instid1(VALU_DEP_1)
	v_cndmask_b32_e64 v10, v13, v10, s1
	v_and_b32_e32 v13, 7, v10
	v_lshrrev_b32_e32 v10, 2, v10
	s_delay_alu instid0(VALU_DEP_2)
	v_cmp_lt_i32_e64 s1, 5, v13
	v_cmp_eq_u32_e64 s2, 3, v13
	v_cndmask_b32_e64 v13, 0, 1, s0
	v_cmp_ne_u32_e64 s0, 0, v4
	v_add_nc_u32_e32 v4, 0xfffffc10, v9
	s_wait_alu 0xfffe
	s_or_b32 s1, s2, s1
	v_or_b32_e32 v12, v12, v13
	s_wait_alu 0xfffe
	v_add_co_ci_u32_e64 v10, s1, 0, v10, s1
	v_lshl_or_b32 v9, v4, 12, v0
	v_cmp_gt_i32_e64 s3, 1, v4
	v_cmp_gt_i32_e64 s1, 31, v7
	v_cmp_ne_u32_e64 s2, 0, v0
	s_wait_alu 0xf1ff
	s_delay_alu instid0(VALU_DEP_3) | instskip(SKIP_3) | instid1(VALU_DEP_4)
	v_cndmask_b32_e64 v9, v9, v12, s3
	v_cndmask_b32_e64 v12, 0, 1, s0
	;; [unrolled: 1-line block ×3, first 2 shown]
	v_cmp_eq_u32_e64 s0, 0x40f, v7
	v_lshrrev_b32_e32 v0, 2, v9
	s_delay_alu instid0(VALU_DEP_4) | instskip(SKIP_1) | instid1(VALU_DEP_1)
	v_lshl_or_b32 v12, v12, 9, 0x7c00
	s_wait_alu 0xf1ff
	v_cndmask_b32_e64 v7, v10, v12, s0
	v_and_b32_e32 v10, 7, v9
	v_cndmask_b32_e64 v9, 0, 1, s2
	s_delay_alu instid0(VALU_DEP_2) | instskip(SKIP_1) | instid1(VALU_DEP_3)
	v_cmp_lt_i32_e64 s0, 5, v10
	v_cmp_eq_u32_e64 s1, 3, v10
	v_lshl_or_b32 v9, v9, 9, 0x7c00
	s_delay_alu instid0(VALU_DEP_2) | instskip(SKIP_4) | instid1(VALU_DEP_1)
	s_or_b32 s0, s1, s0
	s_wait_alu 0xfffe
	v_add_co_ci_u32_e64 v0, s0, 0, v0, s0
	v_cmp_gt_i32_e64 s0, 31, v4
	s_wait_alu 0xf1ff
	v_cndmask_b32_e64 v0, 0x7c00, v0, s0
	v_cmp_eq_u32_e64 s0, 0x40f, v4
	v_and_or_b32 v4, 0x8000, v8, v7
	ds_load_2addr_b32 v[7:8], v141 offset0:98 offset1:223
	s_wait_alu 0xf1ff
	v_cndmask_b32_e64 v0, v0, v9, s0
	v_add_co_u32 v21, s0, v67, s10
	s_wait_alu 0xf1ff
	v_add_co_ci_u32_e64 v22, s0, s11, v68, s0
	s_delay_alu instid0(VALU_DEP_3) | instskip(SKIP_1) | instid1(VALU_DEP_1)
	v_and_or_b32 v0, 0x8000, v1, v0
	v_and_b32_e32 v1, 0xffff, v4
	v_lshl_or_b32 v0, v0, 16, v1
	global_store_b32 v[67:68], v0, off
	s_wait_dscnt 0x0
	v_lshrrev_b32_e32 v25, 16, v7
	v_mul_f16_e32 v0, v26, v7
	s_delay_alu instid0(VALU_DEP_1) | instskip(NEXT) | instid1(VALU_DEP_1)
	v_fma_f16 v0, v128, v25, -v0
	v_cvt_f32_f16_e32 v0, v0
	s_delay_alu instid0(VALU_DEP_1) | instskip(NEXT) | instid1(VALU_DEP_1)
	v_cvt_f64_f32_e32 v[0:1], v0
	v_mul_f64_e32 v[12:13], s[14:15], v[0:1]
	s_delay_alu instid0(VALU_DEP_1) | instskip(SKIP_3) | instid1(VALU_DEP_4)
	v_and_or_b32 v0, 0x1ff, v13, v12
	v_lshrrev_b32_e32 v1, 8, v13
	v_bfe_u32 v28, v13, 20, 11
	v_lshrrev_b32_e32 v13, 16, v13
	v_cmp_ne_u32_e64 s0, 0, v0
	s_wait_alu 0xf1ff
	s_delay_alu instid0(VALU_DEP_1) | instskip(NEXT) | instid1(VALU_DEP_1)
	v_cndmask_b32_e64 v0, 0, 1, s0
	v_and_or_b32 v27, 0xffe, v1, v0
	v_sub_nc_u32_e32 v0, 0x3f1, v28
	s_delay_alu instid0(VALU_DEP_2) | instskip(NEXT) | instid1(VALU_DEP_2)
	v_or_b32_e32 v1, 0x1000, v27
	v_med3_i32 v0, v0, 0, 13
	s_delay_alu instid0(VALU_DEP_1) | instskip(NEXT) | instid1(VALU_DEP_1)
	v_lshrrev_b32_e32 v29, v0, v1
	v_lshlrev_b32_e32 v0, v0, v29
	s_delay_alu instid0(VALU_DEP_1) | instskip(SKIP_4) | instid1(VALU_DEP_1)
	v_cmp_ne_u32_e64 s2, v0, v1
	ds_load_2addr_b32 v[0:1], v142 offset0:86 offset1:211
	s_wait_dscnt 0x0
	v_lshrrev_b32_e32 v4, 16, v1
	v_mul_f16_e32 v9, v32, v1
	v_fma_f16 v9, v126, v4, -v9
	s_delay_alu instid0(VALU_DEP_1) | instskip(NEXT) | instid1(VALU_DEP_1)
	v_cvt_f32_f16_e32 v9, v9
	v_cvt_f64_f32_e32 v[9:10], v9
	s_delay_alu instid0(VALU_DEP_1) | instskip(NEXT) | instid1(VALU_DEP_1)
	v_mul_f64_e32 v[9:10], s[14:15], v[9:10]
	v_and_or_b32 v9, 0x1ff, v10, v9
	v_lshrrev_b32_e32 v12, 8, v10
	v_bfe_u32 v18, v10, 20, 11
	s_delay_alu instid0(VALU_DEP_3) | instskip(SKIP_1) | instid1(VALU_DEP_1)
	v_cmp_ne_u32_e64 s0, 0, v9
	s_wait_alu 0xf1ff
	v_cndmask_b32_e64 v9, 0, 1, s0
	s_delay_alu instid0(VALU_DEP_1) | instskip(SKIP_2) | instid1(VALU_DEP_3)
	v_and_or_b32 v15, 0xffe, v12, v9
	v_sub_nc_u32_e32 v9, 0x3f1, v18
	v_add_nc_u32_e32 v18, 0xfffffc10, v18
	v_or_b32_e32 v12, 0x1000, v15
	s_delay_alu instid0(VALU_DEP_3) | instskip(NEXT) | instid1(VALU_DEP_1)
	v_med3_i32 v9, v9, 0, 13
	v_lshrrev_b32_e32 v20, v9, v12
	s_delay_alu instid0(VALU_DEP_1) | instskip(NEXT) | instid1(VALU_DEP_1)
	v_lshlrev_b32_e32 v9, v9, v20
	v_cmp_ne_u32_e64 s1, v9, v12
	v_lshrrev_b32_e32 v12, 16, v11
	s_delay_alu instid0(VALU_DEP_1) | instskip(SKIP_1) | instid1(VALU_DEP_2)
	v_mul_f16_e64 v9, v137, v12
	v_fma_f16 v30, v132, v12, -v19
	v_fmac_f16_e64 v9, v132, v11
	v_mul_f16_e32 v11, v23, v16
	s_delay_alu instid0(VALU_DEP_1) | instskip(NEXT) | instid1(VALU_DEP_1)
	v_fmac_f16_e64 v11, v131, v3
	v_cvt_f32_f16_e32 v3, v11
	s_delay_alu instid0(VALU_DEP_1) | instskip(NEXT) | instid1(VALU_DEP_1)
	v_cvt_f64_f32_e32 v[11:12], v3
	v_mul_f64_e32 v[11:12], s[14:15], v[11:12]
	s_delay_alu instid0(VALU_DEP_1) | instskip(SKIP_1) | instid1(VALU_DEP_2)
	v_and_or_b32 v3, 0x1ff, v12, v11
	v_lshrrev_b32_e32 v11, 8, v12
	v_cmp_ne_u32_e64 s0, 0, v3
	s_wait_alu 0xf1ff
	s_delay_alu instid0(VALU_DEP_1) | instskip(NEXT) | instid1(VALU_DEP_1)
	v_cndmask_b32_e64 v3, 0, 1, s0
	v_and_or_b32 v3, 0xffe, v11, v3
	v_bfe_u32 v11, v12, 20, 11
	v_lshrrev_b32_e32 v12, 16, v12
	s_delay_alu instid0(VALU_DEP_3) | instskip(NEXT) | instid1(VALU_DEP_3)
	v_or_b32_e32 v19, 0x1000, v3
	v_sub_nc_u32_e32 v16, 0x3f1, v11
	v_add_nc_u32_e32 v11, 0xfffffc10, v11
	s_delay_alu instid0(VALU_DEP_2) | instskip(NEXT) | instid1(VALU_DEP_1)
	v_med3_i32 v16, v16, 0, 13
	v_lshrrev_b32_e32 v23, v16, v19
	s_delay_alu instid0(VALU_DEP_1) | instskip(NEXT) | instid1(VALU_DEP_1)
	v_lshlrev_b32_e32 v16, v16, v23
	v_cmp_ne_u32_e64 s0, v16, v19
	v_lshl_or_b32 v19, v11, 12, v3
	s_wait_alu 0xf1ff
	s_delay_alu instid0(VALU_DEP_2) | instskip(SKIP_1) | instid1(VALU_DEP_2)
	v_cndmask_b32_e64 v16, 0, 1, s0
	v_cmp_gt_i32_e64 s0, 1, v11
	v_or_b32_e32 v16, v23, v16
	s_wait_alu 0xf1ff
	s_delay_alu instid0(VALU_DEP_1) | instskip(NEXT) | instid1(VALU_DEP_1)
	v_cndmask_b32_e64 v16, v19, v16, s0
	v_and_b32_e32 v19, 7, v16
	v_lshrrev_b32_e32 v16, 2, v16
	s_delay_alu instid0(VALU_DEP_2)
	v_cmp_lt_i32_e64 s0, 5, v19
	v_cmp_eq_u32_e64 s3, 3, v19
	s_wait_alu 0xfffd
	v_cndmask_b32_e64 v19, 0, 1, vcc_lo
	v_cmp_ne_u32_e32 vcc_lo, 0, v3
	v_add_nc_u32_e32 v3, 0xfffffc10, v14
	s_or_b32 s0, s3, s0
	s_delay_alu instid0(VALU_DEP_3)
	v_or_b32_e32 v17, v17, v19
	s_wait_alu 0xfffe
	v_add_co_ci_u32_e64 v16, s0, 0, v16, s0
	v_lshl_or_b32 v14, v3, 12, v6
	v_cmp_gt_i32_e64 s4, 1, v3
	v_cmp_gt_i32_e64 s0, 31, v11
	v_cmp_ne_u32_e64 s3, 0, v6
	s_delay_alu instid0(VALU_DEP_3)
	v_cndmask_b32_e64 v14, v14, v17, s4
	s_wait_alu 0xfffd
	v_cndmask_b32_e64 v17, 0, 1, vcc_lo
	s_wait_alu 0xf1ff
	v_cndmask_b32_e64 v16, 0x7c00, v16, s0
	v_cmp_eq_u32_e32 vcc_lo, 0x40f, v11
	v_lshrrev_b32_e32 v6, 2, v14
	v_lshl_or_b32 v17, v17, 9, 0x7c00
	s_wait_alu 0xfffd
	s_delay_alu instid0(VALU_DEP_1) | instskip(SKIP_1) | instid1(VALU_DEP_2)
	v_dual_cndmask_b32 v11, v16, v17 :: v_dual_and_b32 v16, 7, v14
	v_cndmask_b32_e64 v14, 0, 1, s3
	v_cmp_lt_i32_e32 vcc_lo, 5, v16
	v_cmp_eq_u32_e64 s0, 3, v16
	s_delay_alu instid0(VALU_DEP_3) | instskip(NEXT) | instid1(VALU_DEP_2)
	v_lshl_or_b32 v14, v14, 9, 0x7c00
	s_or_b32 vcc_lo, s0, vcc_lo
	s_wait_alu 0xfffe
	v_add_co_ci_u32_e32 v6, vcc_lo, 0, v6, vcc_lo
	v_cmp_gt_i32_e32 vcc_lo, 31, v3
	s_wait_alu 0xfffd
	s_delay_alu instid0(VALU_DEP_2) | instskip(SKIP_2) | instid1(VALU_DEP_2)
	v_cndmask_b32_e32 v6, 0x7c00, v6, vcc_lo
	v_cmp_eq_u32_e32 vcc_lo, 0x40f, v3
	s_wait_alu 0xfffd
	v_cndmask_b32_e32 v3, v6, v14, vcc_lo
	v_and_or_b32 v6, 0x8000, v12, v11
	v_add_co_u32 v23, vcc_lo, v21, s10
	s_wait_alu 0xfffd
	v_add_co_ci_u32_e32 v24, vcc_lo, s11, v22, vcc_lo
	v_and_or_b32 v3, 0x8000, v5, v3
	v_and_b32_e32 v5, 0xffff, v6
	s_delay_alu instid0(VALU_DEP_1)
	v_lshl_or_b32 v3, v3, 16, v5
	ds_load_2addr_b32 v[5:6], v139 offset0:68 offset1:193
	global_store_b32 v[21:22], v3, off
	s_wait_dscnt 0x0
	v_lshrrev_b32_e32 v21, 16, v5
	v_mul_f16_e32 v3, v31, v5
	s_delay_alu instid0(VALU_DEP_1) | instskip(NEXT) | instid1(VALU_DEP_1)
	v_fma_f16 v3, v121, v21, -v3
	v_cvt_f32_f16_e32 v3, v3
	s_delay_alu instid0(VALU_DEP_1) | instskip(NEXT) | instid1(VALU_DEP_1)
	v_cvt_f64_f32_e32 v[11:12], v3
	v_mul_f64_e32 v[11:12], s[14:15], v[11:12]
	s_delay_alu instid0(VALU_DEP_1) | instskip(SKIP_3) | instid1(VALU_DEP_4)
	v_and_or_b32 v3, 0x1ff, v12, v11
	v_lshrrev_b32_e32 v11, 8, v12
	v_bfe_u32 v17, v12, 20, 11
	v_lshrrev_b32_e32 v12, 16, v12
	v_cmp_ne_u32_e32 vcc_lo, 0, v3
	s_wait_alu 0xfffd
	v_cndmask_b32_e64 v3, 0, 1, vcc_lo
	s_delay_alu instid0(VALU_DEP_1) | instskip(SKIP_2) | instid1(VALU_DEP_3)
	v_and_or_b32 v16, 0xffe, v11, v3
	v_sub_nc_u32_e32 v3, 0x3f1, v17
	v_add_nc_u32_e32 v17, 0xfffffc10, v17
	v_or_b32_e32 v11, 0x1000, v16
	s_delay_alu instid0(VALU_DEP_3) | instskip(NEXT) | instid1(VALU_DEP_1)
	v_med3_i32 v3, v3, 0, 13
	v_lshrrev_b32_e32 v19, v3, v11
	s_delay_alu instid0(VALU_DEP_1) | instskip(NEXT) | instid1(VALU_DEP_1)
	v_lshlrev_b32_e32 v3, v3, v19
	v_cmp_ne_u32_e64 s0, v3, v11
	v_mul_f16_e32 v3, v26, v25
	s_delay_alu instid0(VALU_DEP_1) | instskip(NEXT) | instid1(VALU_DEP_1)
	v_fmac_f16_e64 v3, v128, v7
	v_cvt_f32_f16_e32 v3, v3
	s_delay_alu instid0(VALU_DEP_1) | instskip(NEXT) | instid1(VALU_DEP_1)
	v_cvt_f64_f32_e32 v[25:26], v3
	v_mul_f64_e32 v[25:26], s[14:15], v[25:26]
	s_delay_alu instid0(VALU_DEP_1) | instskip(SKIP_1) | instid1(VALU_DEP_2)
	v_and_or_b32 v3, 0x1ff, v26, v25
	v_lshrrev_b32_e32 v7, 8, v26
	v_cmp_ne_u32_e32 vcc_lo, 0, v3
	s_wait_alu 0xfffd
	v_cndmask_b32_e64 v3, 0, 1, vcc_lo
	s_delay_alu instid0(VALU_DEP_1) | instskip(SKIP_1) | instid1(VALU_DEP_2)
	v_and_or_b32 v3, 0xffe, v7, v3
	v_bfe_u32 v7, v26, 20, 11
	v_or_b32_e32 v14, 0x1000, v3
	s_delay_alu instid0(VALU_DEP_2) | instskip(SKIP_1) | instid1(VALU_DEP_2)
	v_sub_nc_u32_e32 v11, 0x3f1, v7
	v_add_nc_u32_e32 v7, 0xfffffc10, v7
	v_med3_i32 v11, v11, 0, 13
	s_delay_alu instid0(VALU_DEP_1) | instskip(NEXT) | instid1(VALU_DEP_1)
	v_lshrrev_b32_e32 v22, v11, v14
	v_lshlrev_b32_e32 v11, v11, v22
	s_delay_alu instid0(VALU_DEP_1) | instskip(SKIP_4) | instid1(VALU_DEP_2)
	v_cmp_ne_u32_e32 vcc_lo, v11, v14
	v_lshl_or_b32 v14, v7, 12, v3
	s_wait_alu 0xfffd
	v_cndmask_b32_e64 v11, 0, 1, vcc_lo
	v_cmp_gt_i32_e32 vcc_lo, 1, v7
	v_or_b32_e32 v11, v22, v11
	s_wait_alu 0xfffd
	s_delay_alu instid0(VALU_DEP_1) | instskip(NEXT) | instid1(VALU_DEP_1)
	v_cndmask_b32_e32 v11, v14, v11, vcc_lo
	v_and_b32_e32 v14, 7, v11
	v_lshrrev_b32_e32 v11, 2, v11
	s_delay_alu instid0(VALU_DEP_2) | instskip(SKIP_4) | instid1(VALU_DEP_4)
	v_cmp_lt_i32_e32 vcc_lo, 5, v14
	v_cmp_eq_u32_e64 s3, 3, v14
	v_cndmask_b32_e64 v14, 0, 1, s2
	v_cmp_ne_u32_e64 s2, 0, v3
	v_add_nc_u32_e32 v3, 0xfffffc10, v28
	s_or_b32 vcc_lo, s3, vcc_lo
	s_delay_alu instid0(VALU_DEP_3)
	v_or_b32_e32 v14, v29, v14
	s_wait_alu 0xfffe
	v_add_co_ci_u32_e32 v11, vcc_lo, 0, v11, vcc_lo
	v_lshl_or_b32 v22, v3, 12, v27
	v_cmp_gt_i32_e64 s4, 1, v3
	v_cmp_gt_i32_e32 vcc_lo, 31, v7
	v_cmp_ne_u32_e64 s3, 0, v27
	v_lshrrev_b32_e32 v29, 16, v116
	s_wait_alu 0xf1ff
	v_cndmask_b32_e64 v14, v22, v14, s4
	v_cndmask_b32_e64 v22, 0, 1, s2
	s_wait_alu 0xfffd
	v_cndmask_b32_e32 v11, 0x7c00, v11, vcc_lo
	v_cmp_eq_u32_e32 vcc_lo, 0x40f, v7
	s_delay_alu instid0(VALU_DEP_3) | instskip(SKIP_1) | instid1(VALU_DEP_1)
	v_lshl_or_b32 v22, v22, 9, 0x7c00
	s_wait_alu 0xfffd
	v_cndmask_b32_e32 v7, v11, v22, vcc_lo
	v_and_b32_e32 v22, 7, v14
	v_lshrrev_b32_e32 v14, 2, v14
	v_lshrrev_b32_e32 v11, 16, v26
	s_delay_alu instid0(VALU_DEP_3) | instskip(SKIP_2) | instid1(VALU_DEP_4)
	v_cmp_lt_i32_e32 vcc_lo, 5, v22
	v_cmp_eq_u32_e64 s2, 3, v22
	v_cndmask_b32_e64 v22, 0, 1, s3
	v_and_or_b32 v7, 0x8000, v11, v7
	s_delay_alu instid0(VALU_DEP_3) | instskip(NEXT) | instid1(VALU_DEP_2)
	s_or_b32 vcc_lo, s2, vcc_lo
	v_lshl_or_b32 v22, v22, 9, 0x7c00
	s_wait_alu 0xfffe
	v_add_co_ci_u32_e32 v14, vcc_lo, 0, v14, vcc_lo
	v_cmp_gt_i32_e32 vcc_lo, 31, v3
	v_and_b32_e32 v7, 0xffff, v7
	s_wait_alu 0xfffd
	s_delay_alu instid0(VALU_DEP_3) | instskip(SKIP_2) | instid1(VALU_DEP_2)
	v_cndmask_b32_e32 v14, 0x7c00, v14, vcc_lo
	v_cmp_eq_u32_e32 vcc_lo, 0x40f, v3
	s_wait_alu 0xfffd
	v_cndmask_b32_e32 v3, v14, v22, vcc_lo
	s_delay_alu instid0(VALU_DEP_1) | instskip(SKIP_3) | instid1(VALU_DEP_3)
	v_and_or_b32 v3, 0x8000, v13, v3
	v_add_co_u32 v13, vcc_lo, v23, s10
	s_wait_alu 0xfffd
	v_add_co_ci_u32_e32 v14, vcc_lo, s11, v24, vcc_lo
	v_lshl_or_b32 v3, v3, 16, v7
	global_store_b32 v[23:24], v3, off
	v_mul_f16_e32 v3, v32, v4
	s_delay_alu instid0(VALU_DEP_1) | instskip(NEXT) | instid1(VALU_DEP_1)
	v_fmac_f16_e32 v3, v126, v1
	v_cvt_f32_f16_e32 v1, v3
	s_delay_alu instid0(VALU_DEP_1) | instskip(NEXT) | instid1(VALU_DEP_1)
	v_cvt_f64_f32_e32 v[3:4], v1
	v_mul_f64_e32 v[3:4], s[14:15], v[3:4]
	s_delay_alu instid0(VALU_DEP_1) | instskip(SKIP_1) | instid1(VALU_DEP_2)
	v_and_or_b32 v1, 0x1ff, v4, v3
	v_lshrrev_b32_e32 v3, 8, v4
	v_cmp_ne_u32_e32 vcc_lo, 0, v1
	s_wait_alu 0xfffd
	v_cndmask_b32_e64 v1, 0, 1, vcc_lo
	s_delay_alu instid0(VALU_DEP_1) | instskip(SKIP_1) | instid1(VALU_DEP_2)
	v_and_or_b32 v1, 0xffe, v3, v1
	v_bfe_u32 v3, v4, 20, 11
	v_or_b32_e32 v11, 0x1000, v1
	s_delay_alu instid0(VALU_DEP_2) | instskip(SKIP_2) | instid1(VALU_DEP_3)
	v_sub_nc_u32_e32 v7, 0x3f1, v3
	v_add_nc_u32_e32 v3, 0xfffffc10, v3
	v_cmp_ne_u32_e64 s2, 0, v1
	v_med3_i32 v7, v7, 0, 13
	s_delay_alu instid0(VALU_DEP_1) | instskip(NEXT) | instid1(VALU_DEP_1)
	v_lshrrev_b32_e32 v22, v7, v11
	v_lshlrev_b32_e32 v7, v7, v22
	s_delay_alu instid0(VALU_DEP_1) | instskip(SKIP_4) | instid1(VALU_DEP_2)
	v_cmp_ne_u32_e32 vcc_lo, v7, v11
	v_lshl_or_b32 v11, v3, 12, v1
	s_wait_alu 0xfffd
	v_cndmask_b32_e64 v7, 0, 1, vcc_lo
	v_cmp_gt_i32_e32 vcc_lo, 1, v3
	v_or_b32_e32 v7, v22, v7
	s_wait_alu 0xfffd
	s_delay_alu instid0(VALU_DEP_1) | instskip(SKIP_2) | instid1(VALU_DEP_2)
	v_cndmask_b32_e32 v7, v11, v7, vcc_lo
	v_cndmask_b32_e64 v11, 0, 1, s1
	v_cmp_gt_i32_e32 vcc_lo, 1, v18
	v_or_b32_e32 v11, v20, v11
	v_lshl_or_b32 v20, v18, 12, v15
	s_wait_alu 0xfffd
	s_delay_alu instid0(VALU_DEP_1) | instskip(SKIP_1) | instid1(VALU_DEP_2)
	v_cndmask_b32_e32 v11, v20, v11, vcc_lo
	v_and_b32_e32 v20, 7, v7
	v_and_b32_e32 v1, 7, v11
	s_delay_alu instid0(VALU_DEP_2) | instskip(SKIP_1) | instid1(VALU_DEP_3)
	v_cmp_lt_i32_e32 vcc_lo, 5, v20
	v_cmp_eq_u32_e64 s1, 3, v20
	v_cmp_lt_i32_e64 s3, 5, v1
	v_cmp_eq_u32_e64 s4, 3, v1
	v_lshrrev_b32_e32 v1, 2, v7
	s_delay_alu instid0(VALU_DEP_4) | instskip(SKIP_1) | instid1(VALU_DEP_3)
	s_or_b32 vcc_lo, s1, vcc_lo
	v_cndmask_b32_e64 v7, 0, 1, s2
	s_or_b32 s1, s4, s3
	s_wait_alu 0xfffe
	v_add_co_ci_u32_e32 v1, vcc_lo, 0, v1, vcc_lo
	v_cmp_gt_i32_e32 vcc_lo, 31, v3
	v_lshl_or_b32 v7, v7, 9, 0x7c00
	s_wait_alu 0xfffd
	s_delay_alu instid0(VALU_DEP_3)
	v_cndmask_b32_e32 v1, 0x7c00, v1, vcc_lo
	v_cmp_eq_u32_e32 vcc_lo, 0x40f, v3
	v_lshrrev_b32_e32 v3, 16, v4
	v_lshrrev_b32_e32 v4, 2, v11
	s_wait_alu 0xfffd
	v_cndmask_b32_e32 v1, v1, v7, vcc_lo
	v_cmp_ne_u32_e32 vcc_lo, 0, v15
	s_delay_alu instid0(VALU_DEP_3) | instskip(SKIP_1) | instid1(VALU_DEP_4)
	v_add_co_ci_u32_e64 v4, s1, 0, v4, s1
	v_cmp_gt_i32_e64 s1, 31, v18
	v_and_or_b32 v1, 0x8000, v3, v1
	s_wait_alu 0xfffd
	v_cndmask_b32_e64 v7, 0, 1, vcc_lo
	v_cmp_eq_u32_e32 vcc_lo, 0x40f, v18
	s_wait_alu 0xf1ff
	v_cndmask_b32_e64 v4, 0x7c00, v4, s1
	v_and_b32_e32 v1, 0xffff, v1
	v_lshl_or_b32 v7, v7, 9, 0x7c00
	s_wait_alu 0xfffd
	s_delay_alu instid0(VALU_DEP_1) | instskip(SKIP_4) | instid1(VALU_DEP_3)
	v_cndmask_b32_e32 v4, v4, v7, vcc_lo
	v_lshrrev_b32_e32 v7, 16, v10
	v_add_co_u32 v22, vcc_lo, v13, s10
	s_wait_alu 0xfffd
	v_add_co_ci_u32_e32 v23, vcc_lo, s11, v14, vcc_lo
	v_and_or_b32 v3, 0x8000, v7, v4
	s_delay_alu instid0(VALU_DEP_1) | instskip(SKIP_3) | instid1(VALU_DEP_2)
	v_lshl_or_b32 v1, v3, 16, v1
	global_store_b32 v[13:14], v1, off
	v_cvt_f32_f16_e32 v1, v30
	v_lshrrev_b32_e32 v30, 16, v113
	v_cvt_f64_f32_e32 v[3:4], v1
	s_delay_alu instid0(VALU_DEP_1) | instskip(SKIP_1) | instid1(VALU_DEP_2)
	v_mul_f64_e32 v[24:25], s[14:15], v[3:4]
	v_lshrrev_b32_e32 v4, 16, v125
	v_and_or_b32 v1, 0x1ff, v25, v24
	v_lshrrev_b32_e32 v3, 8, v25
	v_bfe_u32 v24, v25, 20, 11
	s_delay_alu instid0(VALU_DEP_3) | instskip(SKIP_2) | instid1(VALU_DEP_1)
	v_cmp_ne_u32_e32 vcc_lo, 0, v1
	s_wait_alu 0xfffd
	v_cndmask_b32_e64 v1, 0, 1, vcc_lo
	v_and_or_b32 v18, 0xffe, v3, v1
	v_sub_nc_u32_e32 v1, 0x3f1, v24
	s_delay_alu instid0(VALU_DEP_2) | instskip(NEXT) | instid1(VALU_DEP_2)
	v_or_b32_e32 v3, 0x1000, v18
	v_med3_i32 v1, v1, 0, 13
	s_delay_alu instid0(VALU_DEP_1) | instskip(NEXT) | instid1(VALU_DEP_1)
	v_lshrrev_b32_e32 v26, v1, v3
	v_lshlrev_b32_e32 v1, v1, v26
	s_delay_alu instid0(VALU_DEP_1) | instskip(SKIP_1) | instid1(VALU_DEP_1)
	v_cmp_ne_u32_e64 s1, v1, v3
	v_lshrrev_b32_e32 v3, 16, v8
	v_mul_f16_e32 v1, v4, v3
	v_mul_f16_e32 v4, v4, v8
	s_delay_alu instid0(VALU_DEP_2) | instskip(NEXT) | instid1(VALU_DEP_2)
	v_fmac_f16_e32 v1, v125, v8
	v_fma_f16 v27, v125, v3, -v4
	ds_load_2addr_b32 v[3:4], v129 offset0:110 offset1:235
	v_cvt_f32_f16_e32 v1, v1
	s_wait_dscnt 0x0
	v_lshrrev_b32_e32 v15, 16, v3
	v_mul_f16_e32 v7, v29, v3
	s_delay_alu instid0(VALU_DEP_1) | instskip(NEXT) | instid1(VALU_DEP_1)
	v_fma_f16 v7, v116, v15, -v7
	v_cvt_f32_f16_e32 v7, v7
	s_delay_alu instid0(VALU_DEP_1) | instskip(NEXT) | instid1(VALU_DEP_1)
	v_cvt_f64_f32_e32 v[7:8], v7
	v_mul_f64_e32 v[7:8], s[14:15], v[7:8]
	s_delay_alu instid0(VALU_DEP_1) | instskip(SKIP_3) | instid1(VALU_DEP_4)
	v_and_or_b32 v7, 0x1ff, v8, v7
	v_lshrrev_b32_e32 v10, 8, v8
	v_bfe_u32 v13, v8, 20, 11
	v_lshrrev_b32_e32 v8, 16, v8
	v_cmp_ne_u32_e32 vcc_lo, 0, v7
	s_wait_alu 0xfffd
	v_cndmask_b32_e64 v7, 0, 1, vcc_lo
	s_delay_alu instid0(VALU_DEP_1) | instskip(SKIP_2) | instid1(VALU_DEP_3)
	v_and_or_b32 v11, 0xffe, v10, v7
	v_sub_nc_u32_e32 v7, 0x3f1, v13
	v_add_nc_u32_e32 v13, 0xfffffc10, v13
	v_or_b32_e32 v10, 0x1000, v11
	s_delay_alu instid0(VALU_DEP_3) | instskip(NEXT) | instid1(VALU_DEP_1)
	v_med3_i32 v7, v7, 0, 13
	v_lshrrev_b32_e32 v14, v7, v10
	s_delay_alu instid0(VALU_DEP_1) | instskip(NEXT) | instid1(VALU_DEP_1)
	v_lshlrev_b32_e32 v7, v7, v14
	v_cmp_ne_u32_e32 vcc_lo, v7, v10
	v_mul_f16_e32 v7, v31, v21
	s_delay_alu instid0(VALU_DEP_1) | instskip(NEXT) | instid1(VALU_DEP_1)
	v_fmac_f16_e32 v7, v121, v5
	v_cvt_f32_f16_e32 v5, v7
	s_delay_alu instid0(VALU_DEP_1) | instskip(NEXT) | instid1(VALU_DEP_1)
	v_cvt_f64_f32_e32 v[20:21], v5
	v_mul_f64_e32 v[20:21], s[14:15], v[20:21]
	s_delay_alu instid0(VALU_DEP_1) | instskip(SKIP_1) | instid1(VALU_DEP_2)
	v_and_or_b32 v5, 0x1ff, v21, v20
	v_lshrrev_b32_e32 v7, 8, v21
	v_cmp_ne_u32_e64 s2, 0, v5
	s_wait_alu 0xf1ff
	s_delay_alu instid0(VALU_DEP_1) | instskip(NEXT) | instid1(VALU_DEP_1)
	v_cndmask_b32_e64 v5, 0, 1, s2
	v_and_or_b32 v5, 0xffe, v7, v5
	v_bfe_u32 v7, v21, 20, 11
	s_delay_alu instid0(VALU_DEP_2) | instskip(NEXT) | instid1(VALU_DEP_2)
	v_or_b32_e32 v20, 0x1000, v5
	v_sub_nc_u32_e32 v10, 0x3f1, v7
	v_add_nc_u32_e32 v7, 0xfffffc10, v7
	v_cmp_ne_u32_e64 s4, 0, v5
	s_delay_alu instid0(VALU_DEP_3) | instskip(NEXT) | instid1(VALU_DEP_1)
	v_med3_i32 v10, v10, 0, 13
	v_lshrrev_b32_e32 v28, v10, v20
	s_delay_alu instid0(VALU_DEP_1) | instskip(NEXT) | instid1(VALU_DEP_1)
	v_lshlrev_b32_e32 v10, v10, v28
	v_cmp_ne_u32_e64 s2, v10, v20
	v_lshl_or_b32 v20, v7, 12, v5
	v_cndmask_b32_e64 v5, 0, 1, s0
	v_cmp_gt_i32_e64 s0, 1, v17
	s_wait_alu 0xf1ff
	v_cndmask_b32_e64 v10, 0, 1, s2
	v_cmp_gt_i32_e64 s2, 1, v7
	v_or_b32_e32 v5, v19, v5
	v_lshl_or_b32 v19, v17, 12, v16
	s_delay_alu instid0(VALU_DEP_4) | instskip(NEXT) | instid1(VALU_DEP_2)
	v_or_b32_e32 v10, v28, v10
	v_cndmask_b32_e64 v5, v19, v5, s0
	v_cndmask_b32_e64 v19, 0, 1, s4
	s_wait_alu 0xf1ff
	s_delay_alu instid0(VALU_DEP_3) | instskip(NEXT) | instid1(VALU_DEP_2)
	v_cndmask_b32_e64 v10, v20, v10, s2
	v_lshl_or_b32 v19, v19, 9, 0x7c00
	s_delay_alu instid0(VALU_DEP_2) | instskip(SKIP_1) | instid1(VALU_DEP_2)
	v_and_b32_e32 v20, 7, v10
	v_lshrrev_b32_e32 v10, 2, v10
	v_cmp_lt_i32_e64 s2, 5, v20
	v_cmp_eq_u32_e64 s3, 3, v20
	s_delay_alu instid0(VALU_DEP_1)
	s_or_b32 s0, s3, s2
	v_cmp_ne_u32_e64 s3, 0, v16
	s_wait_alu 0xfffe
	v_add_co_ci_u32_e64 v10, s0, 0, v10, s0
	v_cmp_gt_i32_e64 s0, 31, v7
	s_wait_alu 0xf1ff
	v_cndmask_b32_e64 v16, 0, 1, s3
	s_delay_alu instid0(VALU_DEP_2) | instskip(SKIP_1) | instid1(VALU_DEP_3)
	v_cndmask_b32_e64 v10, 0x7c00, v10, s0
	v_cmp_eq_u32_e64 s0, 0x40f, v7
	v_lshl_or_b32 v16, v16, 9, 0x7c00
	s_wait_alu 0xf1ff
	s_delay_alu instid0(VALU_DEP_2) | instskip(SKIP_3) | instid1(VALU_DEP_3)
	v_cndmask_b32_e64 v7, v10, v19, s0
	v_and_b32_e32 v19, 7, v5
	v_lshrrev_b32_e32 v5, 2, v5
	v_lshrrev_b32_e32 v10, 16, v21
	v_cmp_lt_i32_e64 s0, 5, v19
	v_cmp_eq_u32_e64 s2, 3, v19
	s_delay_alu instid0(VALU_DEP_3) | instskip(NEXT) | instid1(VALU_DEP_2)
	v_and_or_b32 v7, 0x8000, v10, v7
	s_or_b32 s0, s2, s0
	s_delay_alu instid0(VALU_DEP_1) | instskip(SKIP_4) | instid1(VALU_DEP_1)
	v_and_b32_e32 v7, 0xffff, v7
	s_wait_alu 0xfffe
	v_add_co_ci_u32_e64 v5, s0, 0, v5, s0
	v_cmp_gt_i32_e64 s0, 31, v17
	s_wait_alu 0xf1ff
	v_cndmask_b32_e64 v5, 0x7c00, v5, s0
	v_cmp_eq_u32_e64 s0, 0x40f, v17
	s_wait_alu 0xf1ff
	s_delay_alu instid0(VALU_DEP_1) | instskip(SKIP_3) | instid1(VALU_DEP_3)
	v_cndmask_b32_e64 v5, v5, v16, s0
	v_add_co_u32 v16, s0, v22, s8
	s_wait_alu 0xf1ff
	v_add_co_ci_u32_e64 v17, s0, s9, v23, s0
	v_and_or_b32 v5, 0x8000, v12, v5
	s_delay_alu instid0(VALU_DEP_1) | instskip(SKIP_2) | instid1(VALU_DEP_1)
	v_lshl_or_b32 v5, v5, 16, v7
	global_store_b32 v[22:23], v5, off
	v_cvt_f32_f16_e32 v5, v9
	v_cvt_f64_f32_e32 v[9:10], v5
	s_delay_alu instid0(VALU_DEP_1) | instskip(NEXT) | instid1(VALU_DEP_1)
	v_mul_f64_e32 v[9:10], s[14:15], v[9:10]
	v_and_or_b32 v5, 0x1ff, v10, v9
	v_lshrrev_b32_e32 v7, 8, v10
	s_delay_alu instid0(VALU_DEP_2) | instskip(SKIP_1) | instid1(VALU_DEP_1)
	v_cmp_ne_u32_e64 s0, 0, v5
	s_wait_alu 0xf1ff
	v_cndmask_b32_e64 v5, 0, 1, s0
	s_delay_alu instid0(VALU_DEP_1) | instskip(SKIP_1) | instid1(VALU_DEP_2)
	v_and_or_b32 v5, 0xffe, v7, v5
	v_bfe_u32 v7, v10, 20, 11
	v_or_b32_e32 v12, 0x1000, v5
	s_delay_alu instid0(VALU_DEP_2) | instskip(SKIP_2) | instid1(VALU_DEP_3)
	v_sub_nc_u32_e32 v9, 0x3f1, v7
	v_add_nc_u32_e32 v7, 0xfffffc10, v7
	v_cmp_ne_u32_e64 s3, 0, v5
	v_med3_i32 v9, v9, 0, 13
	s_delay_alu instid0(VALU_DEP_1) | instskip(NEXT) | instid1(VALU_DEP_1)
	v_lshrrev_b32_e32 v19, v9, v12
	v_lshlrev_b32_e32 v9, v9, v19
	s_delay_alu instid0(VALU_DEP_1) | instskip(SKIP_3) | instid1(VALU_DEP_3)
	v_cmp_ne_u32_e64 s0, v9, v12
	v_lshl_or_b32 v12, v7, 12, v5
	v_cndmask_b32_e64 v5, 0, 1, s1
	s_wait_alu 0xf1ff
	v_cndmask_b32_e64 v9, 0, 1, s0
	v_cmp_gt_i32_e64 s0, 1, v7
	s_delay_alu instid0(VALU_DEP_3) | instskip(NEXT) | instid1(VALU_DEP_3)
	v_or_b32_e32 v5, v26, v5
	v_or_b32_e32 v9, v19, v9
	s_wait_alu 0xf1ff
	s_delay_alu instid0(VALU_DEP_1) | instskip(NEXT) | instid1(VALU_DEP_1)
	v_cndmask_b32_e64 v9, v12, v9, s0
	v_and_b32_e32 v12, 7, v9
	v_lshrrev_b32_e32 v9, 2, v9
	s_delay_alu instid0(VALU_DEP_2) | instskip(SKIP_2) | instid1(VALU_DEP_2)
	v_cmp_lt_i32_e64 s0, 5, v12
	v_cmp_eq_u32_e64 s2, 3, v12
	v_add_nc_u32_e32 v12, 0xfffffc10, v24
	s_or_b32 s0, s2, s0
	s_delay_alu instid0(VALU_DEP_1)
	v_lshl_or_b32 v19, v12, 12, v18
	v_cmp_gt_i32_e64 s1, 1, v12
	s_wait_alu 0xfffe
	v_add_co_ci_u32_e64 v9, s0, 0, v9, s0
	v_cmp_gt_i32_e64 s0, 31, v7
	v_cmp_ne_u32_e64 s2, 0, v18
	s_wait_alu 0xf1ff
	v_cndmask_b32_e64 v5, v19, v5, s1
	v_cndmask_b32_e64 v19, 0, 1, s3
	;; [unrolled: 1-line block ×3, first 2 shown]
	v_cmp_eq_u32_e64 s0, 0x40f, v7
	s_delay_alu instid0(VALU_DEP_3) | instskip(SKIP_1) | instid1(VALU_DEP_1)
	v_lshl_or_b32 v19, v19, 9, 0x7c00
	s_wait_alu 0xf1ff
	v_cndmask_b32_e64 v7, v9, v19, s0
	v_lshrrev_b32_e32 v9, 16, v10
	v_and_b32_e32 v10, 7, v5
	v_lshrrev_b32_e32 v5, 2, v5
	s_delay_alu instid0(VALU_DEP_3) | instskip(NEXT) | instid1(VALU_DEP_3)
	v_and_or_b32 v7, 0x8000, v9, v7
	v_cmp_lt_i32_e64 s0, 5, v10
	v_cmp_eq_u32_e64 s1, 3, v10
	v_cndmask_b32_e64 v10, 0, 1, s2
	s_delay_alu instid0(VALU_DEP_4) | instskip(NEXT) | instid1(VALU_DEP_3)
	v_and_b32_e32 v7, 0xffff, v7
	s_or_b32 s0, s1, s0
	s_delay_alu instid0(VALU_DEP_2) | instskip(SKIP_4) | instid1(VALU_DEP_1)
	v_lshl_or_b32 v10, v10, 9, 0x7c00
	s_wait_alu 0xfffe
	v_add_co_ci_u32_e64 v5, s0, 0, v5, s0
	v_cmp_gt_i32_e64 s0, 31, v12
	s_wait_alu 0xf1ff
	v_cndmask_b32_e64 v5, 0x7c00, v5, s0
	v_cmp_eq_u32_e64 s0, 0x40f, v12
	s_wait_alu 0xf1ff
	s_delay_alu instid0(VALU_DEP_1) | instskip(SKIP_4) | instid1(VALU_DEP_3)
	v_cndmask_b32_e64 v5, v5, v10, s0
	v_lshrrev_b32_e32 v10, 16, v25
	v_add_co_u32 v19, s0, v16, s10
	s_wait_alu 0xf1ff
	v_add_co_ci_u32_e64 v20, s0, s11, v17, s0
	v_and_or_b32 v5, 0x8000, v10, v5
	s_delay_alu instid0(VALU_DEP_1) | instskip(SKIP_2) | instid1(VALU_DEP_1)
	v_lshl_or_b32 v5, v5, 16, v7
	global_store_b32 v[16:17], v5, off
	v_cvt_f32_f16_e32 v5, v27
	v_cvt_f64_f32_e32 v[9:10], v5
	s_delay_alu instid0(VALU_DEP_1) | instskip(SKIP_1) | instid1(VALU_DEP_2)
	v_mul_f64_e32 v[21:22], s[14:15], v[9:10]
	v_lshrrev_b32_e32 v9, 16, v119
	v_and_or_b32 v5, 0x1ff, v22, v21
	v_lshrrev_b32_e32 v7, 8, v22
	v_bfe_u32 v25, v22, 20, 11
	s_delay_alu instid0(VALU_DEP_3) | instskip(SKIP_1) | instid1(VALU_DEP_1)
	v_cmp_ne_u32_e64 s0, 0, v5
	s_wait_alu 0xf1ff
	v_cndmask_b32_e64 v5, 0, 1, s0
	s_delay_alu instid0(VALU_DEP_1) | instskip(SKIP_1) | instid1(VALU_DEP_2)
	v_and_or_b32 v21, 0xffe, v7, v5
	v_sub_nc_u32_e32 v5, 0x3f1, v25
	v_or_b32_e32 v7, 0x1000, v21
	s_delay_alu instid0(VALU_DEP_2) | instskip(SKIP_1) | instid1(VALU_DEP_2)
	v_med3_i32 v5, v5, 0, 13
	v_cmp_ne_u32_e64 s5, 0, v21
	v_lshrrev_b32_e32 v26, v5, v7
	s_delay_alu instid0(VALU_DEP_1) | instskip(NEXT) | instid1(VALU_DEP_1)
	v_lshlrev_b32_e32 v5, v5, v26
	v_cmp_ne_u32_e64 s1, v5, v7
	v_lshrrev_b32_e32 v5, 16, v6
	s_delay_alu instid0(VALU_DEP_1) | instskip(SKIP_1) | instid1(VALU_DEP_2)
	v_mul_f16_e32 v7, v9, v5
	v_mul_f16_e32 v9, v9, v6
	v_fmac_f16_e32 v7, v119, v6
	s_delay_alu instid0(VALU_DEP_2) | instskip(SKIP_4) | instid1(VALU_DEP_1)
	v_fma_f16 v27, v119, v5, -v9
	ds_load_2addr_b32 v[5:6], v122 offset0:80 offset1:205
	s_wait_dscnt 0x0
	v_lshrrev_b32_e32 v18, 16, v5
	v_mul_f16_e32 v9, v30, v5
	v_fma_f16 v9, v113, v18, -v9
	s_delay_alu instid0(VALU_DEP_1) | instskip(NEXT) | instid1(VALU_DEP_1)
	v_cvt_f32_f16_e32 v9, v9
	v_cvt_f64_f32_e32 v[9:10], v9
	s_delay_alu instid0(VALU_DEP_1) | instskip(NEXT) | instid1(VALU_DEP_1)
	v_mul_f64_e32 v[9:10], s[14:15], v[9:10]
	v_and_or_b32 v9, 0x1ff, v10, v9
	v_lshrrev_b32_e32 v12, 8, v10
	v_bfe_u32 v16, v10, 20, 11
	v_lshrrev_b32_e32 v10, 16, v10
	s_delay_alu instid0(VALU_DEP_4) | instskip(SKIP_1) | instid1(VALU_DEP_1)
	v_cmp_ne_u32_e64 s0, 0, v9
	s_wait_alu 0xf1ff
	v_cndmask_b32_e64 v9, 0, 1, s0
	s_delay_alu instid0(VALU_DEP_1) | instskip(SKIP_1) | instid1(VALU_DEP_2)
	v_and_or_b32 v12, 0xffe, v12, v9
	v_sub_nc_u32_e32 v9, 0x3f1, v16
	v_or_b32_e32 v23, 0x1000, v12
	s_delay_alu instid0(VALU_DEP_2) | instskip(NEXT) | instid1(VALU_DEP_1)
	v_med3_i32 v9, v9, 0, 13
	v_lshrrev_b32_e32 v17, v9, v23
	s_delay_alu instid0(VALU_DEP_1) | instskip(NEXT) | instid1(VALU_DEP_1)
	v_lshlrev_b32_e32 v9, v9, v17
	v_cmp_ne_u32_e64 s0, v9, v23
	v_mul_f16_e32 v9, v29, v15
	v_lshrrev_b32_e32 v29, 16, v108
	s_delay_alu instid0(VALU_DEP_2) | instskip(NEXT) | instid1(VALU_DEP_1)
	v_fmac_f16_e32 v9, v116, v3
	v_cvt_f32_f16_e32 v3, v9
	s_delay_alu instid0(VALU_DEP_1) | instskip(NEXT) | instid1(VALU_DEP_1)
	v_cvt_f64_f32_e32 v[23:24], v3
	v_mul_f64_e32 v[23:24], s[14:15], v[23:24]
	s_delay_alu instid0(VALU_DEP_1) | instskip(SKIP_1) | instid1(VALU_DEP_2)
	v_and_or_b32 v3, 0x1ff, v24, v23
	v_lshrrev_b32_e32 v9, 8, v24
	v_cmp_ne_u32_e64 s2, 0, v3
	s_wait_alu 0xf1ff
	s_delay_alu instid0(VALU_DEP_1) | instskip(NEXT) | instid1(VALU_DEP_1)
	v_cndmask_b32_e64 v3, 0, 1, s2
	v_and_or_b32 v3, 0xffe, v9, v3
	v_bfe_u32 v9, v24, 20, 11
	s_delay_alu instid0(VALU_DEP_2) | instskip(NEXT) | instid1(VALU_DEP_2)
	v_or_b32_e32 v23, 0x1000, v3
	v_sub_nc_u32_e32 v15, 0x3f1, v9
	v_add_nc_u32_e32 v9, 0xfffffc10, v9
	v_cmp_ne_u32_e64 s4, 0, v3
	s_delay_alu instid0(VALU_DEP_3) | instskip(NEXT) | instid1(VALU_DEP_1)
	v_med3_i32 v15, v15, 0, 13
	v_lshrrev_b32_e32 v28, v15, v23
	s_delay_alu instid0(VALU_DEP_1) | instskip(NEXT) | instid1(VALU_DEP_1)
	v_lshlrev_b32_e32 v15, v15, v28
	v_cmp_ne_u32_e64 s2, v15, v23
	v_lshl_or_b32 v23, v9, 12, v3
	s_wait_alu 0xfffd
	v_cndmask_b32_e64 v3, 0, 1, vcc_lo
	v_cmp_gt_i32_e32 vcc_lo, 1, v13
	s_wait_alu 0xf1ff
	v_cndmask_b32_e64 v15, 0, 1, s2
	v_cmp_gt_i32_e64 s2, 1, v9
	v_or_b32_e32 v3, v14, v3
	v_lshl_or_b32 v14, v13, 12, v11
	s_delay_alu instid0(VALU_DEP_4) | instskip(SKIP_1) | instid1(VALU_DEP_2)
	v_or_b32_e32 v15, v28, v15
	s_wait_alu 0xfffd
	v_cndmask_b32_e32 v3, v14, v3, vcc_lo
	s_wait_alu 0xf1ff
	s_delay_alu instid0(VALU_DEP_2) | instskip(NEXT) | instid1(VALU_DEP_1)
	v_cndmask_b32_e64 v15, v23, v15, s2
	v_and_b32_e32 v23, 7, v15
	v_lshrrev_b32_e32 v14, 2, v15
	v_cndmask_b32_e64 v15, 0, 1, s4
	s_delay_alu instid0(VALU_DEP_3) | instskip(SKIP_1) | instid1(VALU_DEP_3)
	v_cmp_lt_i32_e64 s2, 5, v23
	v_cmp_eq_u32_e64 s3, 3, v23
	v_lshl_or_b32 v15, v15, 9, 0x7c00
	s_delay_alu instid0(VALU_DEP_2)
	s_or_b32 vcc_lo, s3, s2
	v_cmp_ne_u32_e64 s3, 0, v11
	s_wait_alu 0xfffe
	v_add_co_ci_u32_e32 v14, vcc_lo, 0, v14, vcc_lo
	v_cmp_gt_i32_e32 vcc_lo, 31, v9
	s_wait_alu 0xf1ff
	v_cndmask_b32_e64 v11, 0, 1, s3
	s_wait_alu 0xfffd
	v_cndmask_b32_e32 v14, 0x7c00, v14, vcc_lo
	v_cmp_eq_u32_e32 vcc_lo, 0x40f, v9
	s_delay_alu instid0(VALU_DEP_3) | instskip(SKIP_1) | instid1(VALU_DEP_3)
	v_lshl_or_b32 v11, v11, 9, 0x7c00
	s_wait_alu 0xfffd
	v_cndmask_b32_e32 v9, v14, v15, vcc_lo
	v_and_b32_e32 v15, 7, v3
	v_lshrrev_b32_e32 v3, 2, v3
	v_lshrrev_b32_e32 v14, 16, v24
	s_delay_alu instid0(VALU_DEP_3) | instskip(SKIP_1) | instid1(VALU_DEP_3)
	v_cmp_lt_i32_e32 vcc_lo, 5, v15
	v_cmp_eq_u32_e64 s2, 3, v15
	v_and_or_b32 v9, 0x8000, v14, v9
	s_delay_alu instid0(VALU_DEP_2) | instskip(SKIP_4) | instid1(VALU_DEP_2)
	s_or_b32 vcc_lo, s2, vcc_lo
	s_wait_alu 0xfffe
	v_add_co_ci_u32_e32 v3, vcc_lo, 0, v3, vcc_lo
	v_cmp_gt_i32_e32 vcc_lo, 31, v13
	s_wait_alu 0xfffd
	v_cndmask_b32_e32 v3, 0x7c00, v3, vcc_lo
	v_cmp_eq_u32_e32 vcc_lo, 0x40f, v13
	v_cvt_f64_f32_e32 v[13:14], v1
	s_wait_alu 0xfffd
	s_delay_alu instid0(VALU_DEP_3) | instskip(NEXT) | instid1(VALU_DEP_1)
	v_cndmask_b32_e32 v3, v3, v11, vcc_lo
	v_and_or_b32 v3, 0x8000, v8, v3
	v_and_b32_e32 v8, 0xffff, v9
	s_delay_alu instid0(VALU_DEP_1)
	v_lshl_or_b32 v3, v3, 16, v8
	v_add_co_u32 v8, vcc_lo, v19, s10
	s_wait_alu 0xfffd
	v_add_co_ci_u32_e32 v9, vcc_lo, s11, v20, vcc_lo
	global_store_b32 v[19:20], v3, off
	v_mul_f64_e32 v[13:14], s[14:15], v[13:14]
	s_delay_alu instid0(VALU_DEP_1) | instskip(SKIP_1) | instid1(VALU_DEP_2)
	v_and_or_b32 v1, 0x1ff, v14, v13
	v_lshrrev_b32_e32 v3, 8, v14
	v_cmp_ne_u32_e32 vcc_lo, 0, v1
	s_wait_alu 0xfffd
	v_cndmask_b32_e64 v1, 0, 1, vcc_lo
	s_delay_alu instid0(VALU_DEP_1) | instskip(SKIP_1) | instid1(VALU_DEP_2)
	v_and_or_b32 v1, 0xffe, v3, v1
	v_bfe_u32 v3, v14, 20, 11
	v_or_b32_e32 v13, 0x1000, v1
	s_delay_alu instid0(VALU_DEP_2) | instskip(SKIP_2) | instid1(VALU_DEP_3)
	v_sub_nc_u32_e32 v11, 0x3f1, v3
	v_add_nc_u32_e32 v3, 0xfffffc10, v3
	v_cmp_ne_u32_e64 s2, 0, v1
	v_med3_i32 v11, v11, 0, 13
	s_delay_alu instid0(VALU_DEP_1) | instskip(NEXT) | instid1(VALU_DEP_1)
	v_lshrrev_b32_e32 v15, v11, v13
	v_lshlrev_b32_e32 v11, v11, v15
	s_delay_alu instid0(VALU_DEP_1) | instskip(SKIP_4) | instid1(VALU_DEP_2)
	v_cmp_ne_u32_e32 vcc_lo, v11, v13
	v_lshl_or_b32 v13, v3, 12, v1
	s_wait_alu 0xfffd
	v_cndmask_b32_e64 v11, 0, 1, vcc_lo
	v_cmp_gt_i32_e32 vcc_lo, 1, v3
	v_or_b32_e32 v11, v15, v11
	v_add_nc_u32_e32 v15, 0xfffffc10, v25
	s_wait_alu 0xfffd
	s_delay_alu instid0(VALU_DEP_2) | instskip(SKIP_1) | instid1(VALU_DEP_3)
	v_cndmask_b32_e32 v11, v13, v11, vcc_lo
	v_cndmask_b32_e64 v13, 0, 1, s1
	v_lshl_or_b32 v19, v15, 12, v21
	v_cmp_gt_i32_e32 vcc_lo, 1, v15
	s_delay_alu instid0(VALU_DEP_3) | instskip(SKIP_1) | instid1(VALU_DEP_1)
	v_or_b32_e32 v13, v26, v13
	s_wait_alu 0xfffd
	v_cndmask_b32_e32 v13, v19, v13, vcc_lo
	v_and_b32_e32 v19, 7, v11
	s_delay_alu instid0(VALU_DEP_2) | instskip(NEXT) | instid1(VALU_DEP_2)
	v_and_b32_e32 v1, 7, v13
	v_cmp_lt_i32_e32 vcc_lo, 5, v19
	v_cmp_eq_u32_e64 s1, 3, v19
	s_delay_alu instid0(VALU_DEP_3) | instskip(SKIP_2) | instid1(VALU_DEP_4)
	v_cmp_lt_i32_e64 s3, 5, v1
	v_cmp_eq_u32_e64 s4, 3, v1
	v_lshrrev_b32_e32 v1, 2, v11
	s_or_b32 vcc_lo, s1, vcc_lo
	v_cndmask_b32_e64 v11, 0, 1, s2
	s_wait_alu 0xfffe
	s_delay_alu instid0(VALU_DEP_2) | instskip(SKIP_1) | instid1(VALU_DEP_3)
	v_add_co_ci_u32_e32 v1, vcc_lo, 0, v1, vcc_lo
	v_cmp_gt_i32_e32 vcc_lo, 31, v3
	v_lshl_or_b32 v11, v11, 9, 0x7c00
	s_wait_alu 0xfffd
	s_delay_alu instid0(VALU_DEP_3) | instskip(SKIP_3) | instid1(VALU_DEP_3)
	v_cndmask_b32_e32 v1, 0x7c00, v1, vcc_lo
	v_cmp_eq_u32_e32 vcc_lo, 0x40f, v3
	v_lshrrev_b32_e32 v3, 16, v14
	s_wait_alu 0xfffd
	v_cndmask_b32_e32 v1, v1, v11, vcc_lo
	v_lshrrev_b32_e32 v11, 2, v13
	s_or_b32 vcc_lo, s4, s3
	v_cndmask_b32_e64 v13, 0, 1, s5
	s_delay_alu instid0(VALU_DEP_3)
	v_and_or_b32 v1, 0x8000, v3, v1
	s_wait_alu 0xfffe
	v_add_co_ci_u32_e32 v11, vcc_lo, 0, v11, vcc_lo
	v_cmp_gt_i32_e32 vcc_lo, 31, v15
	v_lshl_or_b32 v13, v13, 9, 0x7c00
	v_and_b32_e32 v1, 0xffff, v1
	s_wait_alu 0xfffd
	v_cndmask_b32_e32 v11, 0x7c00, v11, vcc_lo
	v_cmp_eq_u32_e32 vcc_lo, 0x40f, v15
	s_wait_alu 0xfffd
	s_delay_alu instid0(VALU_DEP_2) | instskip(SKIP_4) | instid1(VALU_DEP_3)
	v_cndmask_b32_e32 v11, v11, v13, vcc_lo
	v_lshrrev_b32_e32 v13, 16, v22
	v_add_co_u32 v19, vcc_lo, v8, s10
	s_wait_alu 0xfffd
	v_add_co_ci_u32_e32 v20, vcc_lo, s11, v9, vcc_lo
	v_and_or_b32 v3, 0x8000, v13, v11
	s_delay_alu instid0(VALU_DEP_1) | instskip(SKIP_2) | instid1(VALU_DEP_1)
	v_lshl_or_b32 v1, v3, 16, v1
	global_store_b32 v[8:9], v1, off
	v_cvt_f32_f16_e32 v1, v27
	v_cvt_f64_f32_e32 v[8:9], v1
	s_delay_alu instid0(VALU_DEP_1) | instskip(SKIP_1) | instid1(VALU_DEP_2)
	v_mul_f64_e32 v[14:15], s[14:15], v[8:9]
	v_lshrrev_b32_e32 v8, 16, v112
	v_and_or_b32 v1, 0x1ff, v15, v14
	v_lshrrev_b32_e32 v3, 8, v15
	v_bfe_u32 v23, v15, 20, 11
	s_delay_alu instid0(VALU_DEP_3) | instskip(SKIP_2) | instid1(VALU_DEP_1)
	v_cmp_ne_u32_e32 vcc_lo, 0, v1
	s_wait_alu 0xfffd
	v_cndmask_b32_e64 v1, 0, 1, vcc_lo
	v_and_or_b32 v13, 0xffe, v3, v1
	v_sub_nc_u32_e32 v1, 0x3f1, v23
	s_delay_alu instid0(VALU_DEP_2) | instskip(NEXT) | instid1(VALU_DEP_2)
	v_or_b32_e32 v3, 0x1000, v13
	v_med3_i32 v1, v1, 0, 13
	s_delay_alu instid0(VALU_DEP_1) | instskip(NEXT) | instid1(VALU_DEP_1)
	v_lshrrev_b32_e32 v24, v1, v3
	v_lshlrev_b32_e32 v1, v1, v24
	s_delay_alu instid0(VALU_DEP_1) | instskip(SKIP_1) | instid1(VALU_DEP_1)
	v_cmp_ne_u32_e32 vcc_lo, v1, v3
	v_lshrrev_b32_e32 v3, 16, v4
	v_mul_f16_e32 v1, v8, v3
	v_mul_f16_e32 v8, v8, v4
	s_delay_alu instid0(VALU_DEP_2) | instskip(NEXT) | instid1(VALU_DEP_2)
	v_fmac_f16_e32 v1, v112, v4
	v_fma_f16 v25, v112, v3, -v8
	ds_load_2addr_b32 v[3:4], v117 offset0:122 offset1:247
	v_cvt_f32_f16_e32 v1, v1
	s_wait_dscnt 0x0
	v_lshrrev_b32_e32 v26, 16, v3
	v_mul_f16_e32 v8, v29, v3
	s_delay_alu instid0(VALU_DEP_1) | instskip(NEXT) | instid1(VALU_DEP_1)
	v_fma_f16 v8, v108, v26, -v8
	v_cvt_f32_f16_e32 v8, v8
	s_delay_alu instid0(VALU_DEP_1) | instskip(NEXT) | instid1(VALU_DEP_1)
	v_cvt_f64_f32_e32 v[8:9], v8
	v_mul_f64_e32 v[8:9], s[14:15], v[8:9]
	s_delay_alu instid0(VALU_DEP_1) | instskip(SKIP_3) | instid1(VALU_DEP_4)
	v_and_or_b32 v8, 0x1ff, v9, v8
	v_lshrrev_b32_e32 v11, 8, v9
	v_bfe_u32 v27, v9, 20, 11
	v_lshrrev_b32_e32 v9, 16, v9
	v_cmp_ne_u32_e64 s1, 0, v8
	s_wait_alu 0xf1ff
	s_delay_alu instid0(VALU_DEP_1) | instskip(NEXT) | instid1(VALU_DEP_1)
	v_cndmask_b32_e64 v8, 0, 1, s1
	v_and_or_b32 v14, 0xffe, v11, v8
	v_sub_nc_u32_e32 v8, 0x3f1, v27
	s_delay_alu instid0(VALU_DEP_2) | instskip(NEXT) | instid1(VALU_DEP_2)
	v_or_b32_e32 v11, 0x1000, v14
	v_med3_i32 v8, v8, 0, 13
	s_delay_alu instid0(VALU_DEP_1) | instskip(NEXT) | instid1(VALU_DEP_1)
	v_lshrrev_b32_e32 v28, v8, v11
	v_lshlrev_b32_e32 v8, v8, v28
	s_delay_alu instid0(VALU_DEP_1) | instskip(SKIP_1) | instid1(VALU_DEP_1)
	v_cmp_ne_u32_e64 s1, v8, v11
	v_mul_f16_e32 v8, v30, v18
	v_fmac_f16_e32 v8, v113, v5
	s_delay_alu instid0(VALU_DEP_1) | instskip(NEXT) | instid1(VALU_DEP_1)
	v_cvt_f32_f16_e32 v5, v8
	v_cvt_f64_f32_e32 v[21:22], v5
	s_delay_alu instid0(VALU_DEP_1) | instskip(NEXT) | instid1(VALU_DEP_1)
	v_mul_f64_e32 v[21:22], s[14:15], v[21:22]
	v_and_or_b32 v5, 0x1ff, v22, v21
	v_lshrrev_b32_e32 v8, 8, v22
	s_delay_alu instid0(VALU_DEP_2) | instskip(SKIP_1) | instid1(VALU_DEP_1)
	v_cmp_ne_u32_e64 s2, 0, v5
	s_wait_alu 0xf1ff
	v_cndmask_b32_e64 v5, 0, 1, s2
	s_delay_alu instid0(VALU_DEP_1) | instskip(SKIP_1) | instid1(VALU_DEP_2)
	v_and_or_b32 v5, 0xffe, v8, v5
	v_bfe_u32 v8, v22, 20, 11
	v_or_b32_e32 v18, 0x1000, v5
	s_delay_alu instid0(VALU_DEP_2) | instskip(SKIP_1) | instid1(VALU_DEP_2)
	v_sub_nc_u32_e32 v11, 0x3f1, v8
	v_add_nc_u32_e32 v8, 0xfffffc10, v8
	v_med3_i32 v11, v11, 0, 13
	s_delay_alu instid0(VALU_DEP_1) | instskip(NEXT) | instid1(VALU_DEP_1)
	v_lshrrev_b32_e32 v21, v11, v18
	v_lshlrev_b32_e32 v11, v11, v21
	s_delay_alu instid0(VALU_DEP_1) | instskip(SKIP_2) | instid1(VALU_DEP_2)
	v_cmp_ne_u32_e64 s2, v11, v18
	v_lshl_or_b32 v18, v8, 12, v5
	s_wait_alu 0xf1ff
	v_cndmask_b32_e64 v11, 0, 1, s2
	v_cmp_gt_i32_e64 s2, 1, v8
	s_delay_alu instid0(VALU_DEP_2) | instskip(SKIP_1) | instid1(VALU_DEP_1)
	v_or_b32_e32 v11, v21, v11
	s_wait_alu 0xf1ff
	v_cndmask_b32_e64 v11, v18, v11, s2
	s_delay_alu instid0(VALU_DEP_1) | instskip(SKIP_1) | instid1(VALU_DEP_2)
	v_and_b32_e32 v18, 7, v11
	v_lshrrev_b32_e32 v11, 2, v11
	v_cmp_lt_i32_e64 s2, 5, v18
	v_cmp_eq_u32_e64 s3, 3, v18
	v_cndmask_b32_e64 v18, 0, 1, s0
	v_cmp_ne_u32_e64 s0, 0, v5
	v_add_nc_u32_e32 v5, 0xfffffc10, v16
	s_delay_alu instid0(VALU_DEP_4) | instskip(NEXT) | instid1(VALU_DEP_3)
	s_or_b32 s2, s3, s2
	v_or_b32_e32 v17, v17, v18
	s_wait_alu 0xfffe
	v_add_co_ci_u32_e64 v11, s2, 0, v11, s2
	v_lshl_or_b32 v16, v5, 12, v12
	v_cmp_gt_i32_e64 s4, 1, v5
	v_cmp_gt_i32_e64 s2, 31, v8
	v_cmp_ne_u32_e64 s3, 0, v12
	s_wait_alu 0xf1ff
	s_delay_alu instid0(VALU_DEP_3) | instskip(SKIP_3) | instid1(VALU_DEP_4)
	v_cndmask_b32_e64 v16, v16, v17, s4
	v_cndmask_b32_e64 v17, 0, 1, s0
	;; [unrolled: 1-line block ×3, first 2 shown]
	v_cmp_eq_u32_e64 s0, 0x40f, v8
	v_lshrrev_b32_e32 v12, 2, v16
	s_delay_alu instid0(VALU_DEP_4) | instskip(SKIP_1) | instid1(VALU_DEP_1)
	v_lshl_or_b32 v17, v17, 9, 0x7c00
	s_wait_alu 0xf1ff
	v_cndmask_b32_e64 v8, v11, v17, s0
	v_and_b32_e32 v17, 7, v16
	v_cndmask_b32_e64 v16, 0, 1, s3
	v_lshrrev_b32_e32 v11, 16, v22
	s_delay_alu instid0(VALU_DEP_3) | instskip(SKIP_1) | instid1(VALU_DEP_4)
	v_cmp_lt_i32_e64 s0, 5, v17
	v_cmp_eq_u32_e64 s2, 3, v17
	v_lshl_or_b32 v16, v16, 9, 0x7c00
	s_delay_alu instid0(VALU_DEP_4) | instskip(NEXT) | instid1(VALU_DEP_3)
	v_and_or_b32 v8, 0x8000, v11, v8
	s_or_b32 s0, s2, s0
	s_wait_alu 0xfffe
	v_add_co_ci_u32_e64 v12, s0, 0, v12, s0
	v_cmp_gt_i32_e64 s0, 31, v5
	v_and_b32_e32 v8, 0xffff, v8
	s_wait_alu 0xf1ff
	s_delay_alu instid0(VALU_DEP_2) | instskip(SKIP_2) | instid1(VALU_DEP_1)
	v_cndmask_b32_e64 v12, 0x7c00, v12, s0
	v_cmp_eq_u32_e64 s0, 0x40f, v5
	s_wait_alu 0xf1ff
	v_cndmask_b32_e64 v5, v12, v16, s0
	s_delay_alu instid0(VALU_DEP_1) | instskip(SKIP_3) | instid1(VALU_DEP_3)
	v_and_or_b32 v5, 0x8000, v10, v5
	v_add_co_u32 v10, s0, v19, s10
	s_wait_alu 0xf1ff
	v_add_co_ci_u32_e64 v11, s0, s11, v20, s0
	v_lshl_or_b32 v5, v5, 16, v8
	global_store_b32 v[19:20], v5, off
	v_cvt_f32_f16_e32 v5, v7
	s_delay_alu instid0(VALU_DEP_1) | instskip(NEXT) | instid1(VALU_DEP_1)
	v_cvt_f64_f32_e32 v[7:8], v5
	v_mul_f64_e32 v[7:8], s[14:15], v[7:8]
	s_delay_alu instid0(VALU_DEP_1) | instskip(SKIP_1) | instid1(VALU_DEP_2)
	v_and_or_b32 v5, 0x1ff, v8, v7
	v_lshrrev_b32_e32 v7, 8, v8
	v_cmp_ne_u32_e64 s0, 0, v5
	s_wait_alu 0xf1ff
	s_delay_alu instid0(VALU_DEP_1) | instskip(NEXT) | instid1(VALU_DEP_1)
	v_cndmask_b32_e64 v5, 0, 1, s0
	v_and_or_b32 v5, 0xffe, v7, v5
	v_bfe_u32 v7, v8, 20, 11
	v_lshrrev_b32_e32 v8, 16, v8
	s_delay_alu instid0(VALU_DEP_3) | instskip(NEXT) | instid1(VALU_DEP_3)
	v_or_b32_e32 v16, 0x1000, v5
	v_sub_nc_u32_e32 v12, 0x3f1, v7
	v_add_nc_u32_e32 v7, 0xfffffc10, v7
	v_cmp_ne_u32_e64 s3, 0, v5
	s_delay_alu instid0(VALU_DEP_3) | instskip(NEXT) | instid1(VALU_DEP_1)
	v_med3_i32 v12, v12, 0, 13
	v_lshrrev_b32_e32 v17, v12, v16
	s_delay_alu instid0(VALU_DEP_1) | instskip(NEXT) | instid1(VALU_DEP_1)
	v_lshlrev_b32_e32 v12, v12, v17
	v_cmp_ne_u32_e64 s0, v12, v16
	v_lshl_or_b32 v16, v7, 12, v5
	s_wait_alu 0xfffd
	v_cndmask_b32_e64 v5, 0, 1, vcc_lo
	s_wait_alu 0xf1ff
	v_cndmask_b32_e64 v12, 0, 1, s0
	v_cmp_gt_i32_e64 s0, 1, v7
	s_delay_alu instid0(VALU_DEP_3) | instskip(NEXT) | instid1(VALU_DEP_3)
	v_or_b32_e32 v5, v24, v5
	v_or_b32_e32 v12, v17, v12
	s_wait_alu 0xf1ff
	s_delay_alu instid0(VALU_DEP_1) | instskip(NEXT) | instid1(VALU_DEP_1)
	v_cndmask_b32_e64 v12, v16, v12, s0
	v_and_b32_e32 v16, 7, v12
	v_lshrrev_b32_e32 v12, 2, v12
	s_delay_alu instid0(VALU_DEP_2) | instskip(SKIP_2) | instid1(VALU_DEP_1)
	v_cmp_lt_i32_e64 s0, 5, v16
	v_cmp_eq_u32_e64 s2, 3, v16
	v_add_nc_u32_e32 v16, 0xfffffc10, v23
	v_lshl_or_b32 v17, v16, 12, v13
	v_cmp_gt_i32_e32 vcc_lo, 1, v16
	s_wait_alu 0xfffd
	s_delay_alu instid0(VALU_DEP_2)
	v_cndmask_b32_e32 v5, v17, v5, vcc_lo
	s_or_b32 vcc_lo, s2, s0
	v_cndmask_b32_e64 v17, 0, 1, s3
	s_wait_alu 0xfffe
	v_add_co_ci_u32_e32 v12, vcc_lo, 0, v12, vcc_lo
	v_cmp_gt_i32_e32 vcc_lo, 31, v7
	v_cmp_ne_u32_e64 s2, 0, v13
	v_lshl_or_b32 v17, v17, 9, 0x7c00
	s_wait_alu 0xfffd
	v_cndmask_b32_e32 v12, 0x7c00, v12, vcc_lo
	v_cmp_eq_u32_e32 vcc_lo, 0x40f, v7
	s_wait_alu 0xfffd
	s_delay_alu instid0(VALU_DEP_2) | instskip(SKIP_2) | instid1(VALU_DEP_3)
	v_cndmask_b32_e32 v7, v12, v17, vcc_lo
	v_and_b32_e32 v12, 7, v5
	v_lshrrev_b32_e32 v5, 2, v5
	v_and_or_b32 v7, 0x8000, v8, v7
	s_delay_alu instid0(VALU_DEP_3) | instskip(SKIP_4) | instid1(VALU_DEP_3)
	v_cmp_lt_i32_e32 vcc_lo, 5, v12
	v_cmp_eq_u32_e64 s0, 3, v12
	s_wait_alu 0xf1ff
	v_cndmask_b32_e64 v12, 0, 1, s2
	v_and_b32_e32 v7, 0xffff, v7
	s_or_b32 vcc_lo, s0, vcc_lo
	s_delay_alu instid0(VALU_DEP_2) | instskip(SKIP_4) | instid1(VALU_DEP_2)
	v_lshl_or_b32 v12, v12, 9, 0x7c00
	s_wait_alu 0xfffe
	v_add_co_ci_u32_e32 v5, vcc_lo, 0, v5, vcc_lo
	v_cmp_gt_i32_e32 vcc_lo, 31, v16
	s_wait_alu 0xfffd
	v_cndmask_b32_e32 v5, 0x7c00, v5, vcc_lo
	v_cmp_eq_u32_e32 vcc_lo, 0x40f, v16
	s_wait_alu 0xfffd
	s_delay_alu instid0(VALU_DEP_2) | instskip(SKIP_4) | instid1(VALU_DEP_3)
	v_cndmask_b32_e32 v5, v5, v12, vcc_lo
	v_lshrrev_b32_e32 v12, 16, v15
	v_add_co_u32 v15, vcc_lo, v10, s8
	s_wait_alu 0xfffd
	v_add_co_ci_u32_e32 v16, vcc_lo, s9, v11, vcc_lo
	v_and_or_b32 v5, 0x8000, v12, v5
	s_delay_alu instid0(VALU_DEP_1) | instskip(SKIP_2) | instid1(VALU_DEP_1)
	v_lshl_or_b32 v5, v5, 16, v7
	global_store_b32 v[10:11], v5, off
	v_cvt_f32_f16_e32 v5, v25
	v_cvt_f64_f32_e32 v[7:8], v5
	s_delay_alu instid0(VALU_DEP_1) | instskip(NEXT) | instid1(VALU_DEP_1)
	v_mul_f64_e32 v[7:8], s[14:15], v[7:8]
	v_and_or_b32 v5, 0x1ff, v8, v7
	v_lshrrev_b32_e32 v7, 8, v8
	v_bfe_u32 v12, v8, 20, 11
	s_delay_alu instid0(VALU_DEP_3) | instskip(SKIP_2) | instid1(VALU_DEP_1)
	v_cmp_ne_u32_e32 vcc_lo, 0, v5
	s_wait_alu 0xfffd
	v_cndmask_b32_e64 v5, 0, 1, vcc_lo
	v_and_or_b32 v5, 0xffe, v7, v5
	v_sub_nc_u32_e32 v7, 0x3f1, v12
	v_add_nc_u32_e32 v12, 0xfffffc10, v12
	s_delay_alu instid0(VALU_DEP_3) | instskip(NEXT) | instid1(VALU_DEP_3)
	v_or_b32_e32 v10, 0x1000, v5
	v_med3_i32 v7, v7, 0, 13
	s_delay_alu instid0(VALU_DEP_1) | instskip(NEXT) | instid1(VALU_DEP_1)
	v_lshrrev_b32_e32 v13, v7, v10
	v_lshlrev_b32_e32 v7, v7, v13
	s_delay_alu instid0(VALU_DEP_1) | instskip(SKIP_2) | instid1(VALU_DEP_1)
	v_cmp_ne_u32_e32 vcc_lo, v7, v10
	v_lshrrev_b32_e32 v7, 16, v6
	v_lshrrev_b32_e32 v10, 16, v109
	v_mul_f16_e32 v11, v10, v7
	v_mul_f16_e32 v10, v10, v6
	s_delay_alu instid0(VALU_DEP_2) | instskip(SKIP_1) | instid1(VALU_DEP_3)
	v_fmac_f16_e32 v11, v109, v6
	v_mul_f16_e32 v6, v29, v26
	v_fma_f16 v17, v109, v7, -v10
	v_lshrrev_b32_e32 v29, 16, v90
	s_delay_alu instid0(VALU_DEP_3) | instskip(NEXT) | instid1(VALU_DEP_1)
	v_fmac_f16_e32 v6, v108, v3
	v_cvt_f32_f16_e32 v3, v6
	s_delay_alu instid0(VALU_DEP_1) | instskip(NEXT) | instid1(VALU_DEP_1)
	v_cvt_f64_f32_e32 v[6:7], v3
	v_mul_f64_e32 v[6:7], s[14:15], v[6:7]
	s_delay_alu instid0(VALU_DEP_1) | instskip(SKIP_1) | instid1(VALU_DEP_2)
	v_and_or_b32 v3, 0x1ff, v7, v6
	v_lshrrev_b32_e32 v6, 8, v7
	v_cmp_ne_u32_e64 s0, 0, v3
	s_wait_alu 0xf1ff
	s_delay_alu instid0(VALU_DEP_1) | instskip(NEXT) | instid1(VALU_DEP_1)
	v_cndmask_b32_e64 v3, 0, 1, s0
	v_and_or_b32 v3, 0xffe, v6, v3
	v_bfe_u32 v6, v7, 20, 11
	v_lshrrev_b32_e32 v7, 16, v7
	s_delay_alu instid0(VALU_DEP_3) | instskip(NEXT) | instid1(VALU_DEP_3)
	v_or_b32_e32 v18, 0x1000, v3
	v_sub_nc_u32_e32 v10, 0x3f1, v6
	v_add_nc_u32_e32 v6, 0xfffffc10, v6
	v_cmp_ne_u32_e64 s3, 0, v3
	s_delay_alu instid0(VALU_DEP_3) | instskip(NEXT) | instid1(VALU_DEP_1)
	v_med3_i32 v10, v10, 0, 13
	v_lshrrev_b32_e32 v19, v10, v18
	s_delay_alu instid0(VALU_DEP_1) | instskip(NEXT) | instid1(VALU_DEP_1)
	v_lshlrev_b32_e32 v10, v10, v19
	v_cmp_ne_u32_e64 s0, v10, v18
	v_lshl_or_b32 v18, v6, 12, v3
	v_cndmask_b32_e64 v3, 0, 1, s1
	s_wait_alu 0xf1ff
	s_delay_alu instid0(VALU_DEP_3) | instskip(SKIP_1) | instid1(VALU_DEP_3)
	v_cndmask_b32_e64 v10, 0, 1, s0
	v_cmp_gt_i32_e64 s0, 1, v6
	v_or_b32_e32 v3, v28, v3
	v_lshrrev_b32_e32 v28, 16, v104
	s_delay_alu instid0(VALU_DEP_4) | instskip(SKIP_1) | instid1(VALU_DEP_1)
	v_or_b32_e32 v10, v19, v10
	s_wait_alu 0xf1ff
	v_cndmask_b32_e64 v10, v18, v10, s0
	s_delay_alu instid0(VALU_DEP_1) | instskip(SKIP_1) | instid1(VALU_DEP_2)
	v_and_b32_e32 v18, 7, v10
	v_lshrrev_b32_e32 v10, 2, v10
	v_cmp_lt_i32_e64 s0, 5, v18
	v_cmp_eq_u32_e64 s2, 3, v18
	v_add_nc_u32_e32 v18, 0xfffffc10, v27
	s_delay_alu instid0(VALU_DEP_2) | instskip(NEXT) | instid1(VALU_DEP_1)
	s_or_b32 s0, s2, s0
	v_lshl_or_b32 v19, v18, 12, v14
	v_cmp_gt_i32_e64 s1, 1, v18
	s_wait_alu 0xfffe
	v_add_co_ci_u32_e64 v10, s0, 0, v10, s0
	v_cmp_gt_i32_e64 s0, 31, v6
	v_cmp_ne_u32_e64 s2, 0, v14
	s_wait_alu 0xf1ff
	v_cndmask_b32_e64 v3, v19, v3, s1
	v_cndmask_b32_e64 v19, 0, 1, s3
	v_cndmask_b32_e64 v10, 0x7c00, v10, s0
	v_cmp_eq_u32_e64 s0, 0x40f, v6
	s_delay_alu instid0(VALU_DEP_3) | instskip(SKIP_1) | instid1(VALU_DEP_1)
	v_lshl_or_b32 v19, v19, 9, 0x7c00
	s_wait_alu 0xf1ff
	v_cndmask_b32_e64 v6, v10, v19, s0
	v_and_b32_e32 v10, 7, v3
	v_lshrrev_b32_e32 v3, 2, v3
	s_delay_alu instid0(VALU_DEP_3) | instskip(NEXT) | instid1(VALU_DEP_3)
	v_and_or_b32 v6, 0x8000, v7, v6
	v_cmp_lt_i32_e64 s0, 5, v10
	v_cmp_eq_u32_e64 s1, 3, v10
	v_cndmask_b32_e64 v10, 0, 1, s2
	s_delay_alu instid0(VALU_DEP_4) | instskip(NEXT) | instid1(VALU_DEP_3)
	v_and_b32_e32 v6, 0xffff, v6
	s_or_b32 s0, s1, s0
	s_delay_alu instid0(VALU_DEP_2) | instskip(SKIP_4) | instid1(VALU_DEP_1)
	v_lshl_or_b32 v10, v10, 9, 0x7c00
	s_wait_alu 0xfffe
	v_add_co_ci_u32_e64 v3, s0, 0, v3, s0
	v_cmp_gt_i32_e64 s0, 31, v18
	s_wait_alu 0xf1ff
	v_cndmask_b32_e64 v3, 0x7c00, v3, s0
	v_cmp_eq_u32_e64 s0, 0x40f, v18
	s_wait_alu 0xf1ff
	s_delay_alu instid0(VALU_DEP_1) | instskip(SKIP_3) | instid1(VALU_DEP_3)
	v_cndmask_b32_e64 v3, v3, v10, s0
	v_add_co_u32 v18, s0, v15, s10
	s_wait_alu 0xf1ff
	v_add_co_ci_u32_e64 v19, s0, s11, v16, s0
	v_and_or_b32 v3, 0x8000, v9, v3
	s_delay_alu instid0(VALU_DEP_1)
	v_lshl_or_b32 v3, v3, 16, v6
	ds_load_2addr_b32 v[6:7], v124 offset0:92 offset1:217
	global_store_b32 v[15:16], v3, off
	s_wait_dscnt 0x0
	v_lshrrev_b32_e32 v20, 16, v6
	v_mul_f16_e32 v3, v28, v6
	s_delay_alu instid0(VALU_DEP_1) | instskip(NEXT) | instid1(VALU_DEP_1)
	v_fma_f16 v3, v104, v20, -v3
	v_cvt_f32_f16_e32 v3, v3
	s_delay_alu instid0(VALU_DEP_1) | instskip(NEXT) | instid1(VALU_DEP_1)
	v_cvt_f64_f32_e32 v[9:10], v3
	v_mul_f64_e32 v[15:16], s[14:15], v[9:10]
	s_delay_alu instid0(VALU_DEP_1) | instskip(SKIP_3) | instid1(VALU_DEP_4)
	v_and_or_b32 v3, 0x1ff, v16, v15
	v_lshrrev_b32_e32 v9, 8, v16
	v_bfe_u32 v22, v16, 20, 11
	v_lshrrev_b32_e32 v16, 16, v16
	v_cmp_ne_u32_e64 s0, 0, v3
	s_wait_alu 0xf1ff
	s_delay_alu instid0(VALU_DEP_1) | instskip(NEXT) | instid1(VALU_DEP_1)
	v_cndmask_b32_e64 v3, 0, 1, s0
	v_and_or_b32 v21, 0xffe, v9, v3
	v_sub_nc_u32_e32 v3, 0x3f1, v22
	v_add_nc_u32_e32 v22, 0xfffffc10, v22
	s_delay_alu instid0(VALU_DEP_3) | instskip(NEXT) | instid1(VALU_DEP_3)
	v_or_b32_e32 v9, 0x1000, v21
	v_med3_i32 v3, v3, 0, 13
	s_delay_alu instid0(VALU_DEP_1) | instskip(NEXT) | instid1(VALU_DEP_1)
	v_lshrrev_b32_e32 v23, v3, v9
	v_lshlrev_b32_e32 v3, v3, v23
	s_delay_alu instid0(VALU_DEP_1) | instskip(SKIP_1) | instid1(VALU_DEP_1)
	v_cmp_ne_u32_e64 s1, v3, v9
	v_cvt_f32_f16_e32 v3, v17
	v_cvt_f64_f32_e32 v[9:10], v3
	s_delay_alu instid0(VALU_DEP_1) | instskip(NEXT) | instid1(VALU_DEP_1)
	v_mul_f64_e32 v[9:10], s[14:15], v[9:10]
	v_and_or_b32 v3, 0x1ff, v10, v9
	v_lshrrev_b32_e32 v9, 8, v10
	v_bfe_u32 v15, v10, 20, 11
	v_lshrrev_b32_e32 v10, 16, v10
	s_delay_alu instid0(VALU_DEP_4) | instskip(SKIP_1) | instid1(VALU_DEP_1)
	v_cmp_ne_u32_e64 s0, 0, v3
	s_wait_alu 0xf1ff
	v_cndmask_b32_e64 v3, 0, 1, s0
	s_delay_alu instid0(VALU_DEP_1) | instskip(SKIP_2) | instid1(VALU_DEP_3)
	v_and_or_b32 v14, 0xffe, v9, v3
	v_sub_nc_u32_e32 v3, 0x3f1, v15
	v_add_nc_u32_e32 v15, 0xfffffc10, v15
	v_or_b32_e32 v9, 0x1000, v14
	s_delay_alu instid0(VALU_DEP_3) | instskip(SKIP_1) | instid1(VALU_DEP_2)
	v_med3_i32 v3, v3, 0, 13
	v_cmp_ne_u32_e64 s6, 0, v14
	v_lshrrev_b32_e32 v17, v3, v9
	s_delay_alu instid0(VALU_DEP_1) | instskip(NEXT) | instid1(VALU_DEP_1)
	v_lshlrev_b32_e32 v3, v3, v17
	v_cmp_ne_u32_e64 s0, v3, v9
	v_lshrrev_b32_e32 v3, 16, v4
	v_lshrrev_b32_e32 v9, 16, v105
	s_delay_alu instid0(VALU_DEP_1) | instskip(SKIP_1) | instid1(VALU_DEP_2)
	v_mul_f16_e32 v24, v9, v3
	v_mul_f16_e32 v9, v9, v4
	v_fmac_f16_e32 v24, v105, v4
	s_delay_alu instid0(VALU_DEP_2) | instskip(SKIP_1) | instid1(VALU_DEP_1)
	v_fma_f16 v25, v105, v3, -v9
	v_cvt_f64_f32_e32 v[3:4], v1
	v_mul_f64_e32 v[3:4], s[14:15], v[3:4]
	s_delay_alu instid0(VALU_DEP_1) | instskip(SKIP_1) | instid1(VALU_DEP_2)
	v_and_or_b32 v1, 0x1ff, v4, v3
	v_lshrrev_b32_e32 v3, 8, v4
	v_cmp_ne_u32_e64 s2, 0, v1
	s_wait_alu 0xf1ff
	s_delay_alu instid0(VALU_DEP_1) | instskip(NEXT) | instid1(VALU_DEP_1)
	v_cndmask_b32_e64 v1, 0, 1, s2
	v_and_or_b32 v1, 0xffe, v3, v1
	v_bfe_u32 v3, v4, 20, 11
	v_lshrrev_b32_e32 v4, 16, v4
	s_delay_alu instid0(VALU_DEP_3) | instskip(NEXT) | instid1(VALU_DEP_3)
	v_or_b32_e32 v26, 0x1000, v1
	v_sub_nc_u32_e32 v9, 0x3f1, v3
	v_add_nc_u32_e32 v3, 0xfffffc10, v3
	v_cmp_ne_u32_e64 s4, 0, v1
	s_delay_alu instid0(VALU_DEP_3) | instskip(NEXT) | instid1(VALU_DEP_1)
	v_med3_i32 v9, v9, 0, 13
	v_lshrrev_b32_e32 v27, v9, v26
	s_delay_alu instid0(VALU_DEP_1) | instskip(NEXT) | instid1(VALU_DEP_1)
	v_lshlrev_b32_e32 v9, v9, v27
	v_cmp_ne_u32_e64 s2, v9, v26
	v_lshl_or_b32 v26, v3, 12, v1
	s_wait_alu 0xfffd
	v_cndmask_b32_e64 v1, 0, 1, vcc_lo
	v_cmp_gt_i32_e32 vcc_lo, 1, v12
	s_wait_alu 0xf1ff
	v_cndmask_b32_e64 v9, 0, 1, s2
	v_cmp_gt_i32_e64 s2, 1, v3
	v_or_b32_e32 v1, v13, v1
	v_lshl_or_b32 v13, v12, 12, v5
	s_delay_alu instid0(VALU_DEP_4) | instskip(SKIP_1) | instid1(VALU_DEP_2)
	v_or_b32_e32 v9, v27, v9
	s_wait_alu 0xfffd
	v_cndmask_b32_e32 v1, v13, v1, vcc_lo
	v_cndmask_b32_e64 v13, 0, 1, s4
	s_wait_alu 0xf1ff
	v_cndmask_b32_e64 v9, v26, v9, s2
	s_delay_alu instid0(VALU_DEP_2) | instskip(NEXT) | instid1(VALU_DEP_2)
	v_lshl_or_b32 v13, v13, 9, 0x7c00
	v_and_b32_e32 v26, 7, v9
	v_lshrrev_b32_e32 v9, 2, v9
	s_delay_alu instid0(VALU_DEP_2) | instskip(SKIP_1) | instid1(VALU_DEP_1)
	v_cmp_lt_i32_e64 s2, 5, v26
	v_cmp_eq_u32_e64 s3, 3, v26
	s_or_b32 vcc_lo, s3, s2
	v_cmp_ne_u32_e64 s3, 0, v5
	s_wait_alu 0xfffe
	v_add_co_ci_u32_e32 v9, vcc_lo, 0, v9, vcc_lo
	v_cmp_gt_i32_e32 vcc_lo, 31, v3
	s_wait_alu 0xf1ff
	v_cndmask_b32_e64 v5, 0, 1, s3
	s_wait_alu 0xfffd
	v_cndmask_b32_e32 v9, 0x7c00, v9, vcc_lo
	v_cmp_eq_u32_e32 vcc_lo, 0x40f, v3
	s_delay_alu instid0(VALU_DEP_3) | instskip(SKIP_1) | instid1(VALU_DEP_3)
	v_lshl_or_b32 v5, v5, 9, 0x7c00
	s_wait_alu 0xfffd
	v_cndmask_b32_e32 v3, v9, v13, vcc_lo
	v_and_b32_e32 v9, 7, v1
	v_lshrrev_b32_e32 v1, 2, v1
	s_delay_alu instid0(VALU_DEP_3) | instskip(NEXT) | instid1(VALU_DEP_3)
	v_and_or_b32 v3, 0x8000, v4, v3
	v_cmp_lt_i32_e32 vcc_lo, 5, v9
	v_cmp_eq_u32_e64 s2, 3, v9
	s_delay_alu instid0(VALU_DEP_3) | instskip(NEXT) | instid1(VALU_DEP_2)
	v_and_b32_e32 v3, 0xffff, v3
	s_or_b32 vcc_lo, s2, vcc_lo
	s_wait_alu 0xfffe
	v_add_co_ci_u32_e32 v1, vcc_lo, 0, v1, vcc_lo
	v_cmp_gt_i32_e32 vcc_lo, 31, v12
	s_wait_alu 0xfffd
	s_delay_alu instid0(VALU_DEP_2) | instskip(SKIP_2) | instid1(VALU_DEP_2)
	v_cndmask_b32_e32 v1, 0x7c00, v1, vcc_lo
	v_cmp_eq_u32_e32 vcc_lo, 0x40f, v12
	s_wait_alu 0xfffd
	v_cndmask_b32_e32 v1, v1, v5, vcc_lo
	v_lshrrev_b32_e32 v5, 16, v8
	v_add_co_u32 v12, vcc_lo, v18, s10
	s_wait_alu 0xfffd
	v_add_co_ci_u32_e32 v13, vcc_lo, s11, v19, vcc_lo
	s_delay_alu instid0(VALU_DEP_3)
	v_and_or_b32 v1, 0x8000, v5, v1
	ds_load_2addr_b32 v[4:5], v118 offset0:62 offset1:187
	v_lshl_or_b32 v1, v1, 16, v3
	global_store_b32 v[18:19], v1, off
	s_wait_dscnt 0x0
	v_lshrrev_b32_e32 v26, 16, v4
	v_mul_f16_e32 v1, v29, v4
	s_delay_alu instid0(VALU_DEP_1) | instskip(NEXT) | instid1(VALU_DEP_1)
	v_fma_f16 v1, v90, v26, -v1
	v_cvt_f32_f16_e32 v1, v1
	s_delay_alu instid0(VALU_DEP_1) | instskip(NEXT) | instid1(VALU_DEP_1)
	v_cvt_f64_f32_e32 v[8:9], v1
	v_mul_f64_e32 v[8:9], s[14:15], v[8:9]
	s_delay_alu instid0(VALU_DEP_1) | instskip(SKIP_1) | instid1(VALU_DEP_2)
	v_and_or_b32 v1, 0x1ff, v9, v8
	v_lshrrev_b32_e32 v3, 8, v9
	v_cmp_ne_u32_e32 vcc_lo, 0, v1
	s_wait_alu 0xfffd
	v_cndmask_b32_e64 v1, 0, 1, vcc_lo
	s_delay_alu instid0(VALU_DEP_1) | instskip(SKIP_2) | instid1(VALU_DEP_3)
	v_and_or_b32 v1, 0xffe, v3, v1
	v_bfe_u32 v3, v9, 20, 11
	v_lshrrev_b32_e32 v9, 16, v9
	v_or_b32_e32 v19, 0x1000, v1
	s_delay_alu instid0(VALU_DEP_3) | instskip(SKIP_1) | instid1(VALU_DEP_2)
	v_sub_nc_u32_e32 v8, 0x3f1, v3
	v_add_nc_u32_e32 v3, 0xfffffc10, v3
	v_med3_i32 v18, v8, 0, 13
	s_delay_alu instid0(VALU_DEP_1) | instskip(NEXT) | instid1(VALU_DEP_1)
	v_lshrrev_b32_e32 v8, v18, v19
	v_lshlrev_b32_e32 v18, v18, v8
	s_delay_alu instid0(VALU_DEP_1) | instskip(SKIP_1) | instid1(VALU_DEP_1)
	v_cmp_ne_u32_e32 vcc_lo, v18, v19
	v_mul_f16_e32 v18, v28, v20
	v_fmac_f16_e32 v18, v104, v6
	s_delay_alu instid0(VALU_DEP_1) | instskip(NEXT) | instid1(VALU_DEP_1)
	v_cvt_f32_f16_e32 v6, v18
	v_cvt_f64_f32_e32 v[18:19], v6
	s_delay_alu instid0(VALU_DEP_1) | instskip(NEXT) | instid1(VALU_DEP_1)
	v_mul_f64_e32 v[18:19], s[14:15], v[18:19]
	v_and_or_b32 v6, 0x1ff, v19, v18
	v_lshrrev_b32_e32 v18, 8, v19
	s_delay_alu instid0(VALU_DEP_2) | instskip(SKIP_1) | instid1(VALU_DEP_1)
	v_cmp_ne_u32_e64 s2, 0, v6
	s_wait_alu 0xf1ff
	v_cndmask_b32_e64 v6, 0, 1, s2
	s_delay_alu instid0(VALU_DEP_1) | instskip(SKIP_2) | instid1(VALU_DEP_3)
	v_and_or_b32 v6, 0xffe, v18, v6
	v_bfe_u32 v18, v19, 20, 11
	v_lshrrev_b32_e32 v19, 16, v19
	v_or_b32_e32 v27, 0x1000, v6
	s_delay_alu instid0(VALU_DEP_3) | instskip(SKIP_2) | instid1(VALU_DEP_3)
	v_sub_nc_u32_e32 v20, 0x3f1, v18
	v_add_nc_u32_e32 v18, 0xfffffc10, v18
	v_cmp_ne_u32_e64 s4, 0, v6
	v_med3_i32 v20, v20, 0, 13
	s_delay_alu instid0(VALU_DEP_1) | instskip(NEXT) | instid1(VALU_DEP_1)
	v_lshrrev_b32_e32 v28, v20, v27
	v_lshlrev_b32_e32 v20, v20, v28
	s_delay_alu instid0(VALU_DEP_1)
	v_cmp_ne_u32_e64 s2, v20, v27
	v_lshl_or_b32 v27, v18, 12, v6
	v_cndmask_b32_e64 v6, 0, 1, s1
	v_cmp_gt_i32_e64 s1, 1, v22
	s_wait_alu 0xf1ff
	v_cndmask_b32_e64 v20, 0, 1, s2
	v_cmp_gt_i32_e64 s2, 1, v18
	v_or_b32_e32 v6, v23, v6
	v_lshl_or_b32 v23, v22, 12, v21
	s_delay_alu instid0(VALU_DEP_4) | instskip(NEXT) | instid1(VALU_DEP_2)
	v_or_b32_e32 v20, v28, v20
	v_cndmask_b32_e64 v6, v23, v6, s1
	v_cndmask_b32_e64 v23, 0, 1, s4
	s_wait_alu 0xf1ff
	s_delay_alu instid0(VALU_DEP_3) | instskip(NEXT) | instid1(VALU_DEP_2)
	v_cndmask_b32_e64 v20, v27, v20, s2
	v_lshl_or_b32 v23, v23, 9, 0x7c00
	s_delay_alu instid0(VALU_DEP_2) | instskip(SKIP_1) | instid1(VALU_DEP_2)
	v_and_b32_e32 v27, 7, v20
	v_lshrrev_b32_e32 v20, 2, v20
	v_cmp_lt_i32_e64 s2, 5, v27
	v_cmp_eq_u32_e64 s3, 3, v27
	v_lshrrev_b32_e32 v27, 16, v99
	s_delay_alu instid0(VALU_DEP_2)
	s_or_b32 s1, s3, s2
	v_cmp_ne_u32_e64 s3, 0, v21
	s_wait_alu 0xfffe
	v_add_co_ci_u32_e64 v20, s1, 0, v20, s1
	v_cmp_gt_i32_e64 s1, 31, v18
	s_wait_alu 0xf1ff
	s_delay_alu instid0(VALU_DEP_1) | instskip(SKIP_2) | instid1(VALU_DEP_1)
	v_cndmask_b32_e64 v20, 0x7c00, v20, s1
	v_cmp_eq_u32_e64 s1, 0x40f, v18
	s_wait_alu 0xf1ff
	v_cndmask_b32_e64 v18, v20, v23, s1
	v_and_b32_e32 v20, 7, v6
	v_lshrrev_b32_e32 v6, 2, v6
	s_delay_alu instid0(VALU_DEP_3) | instskip(NEXT) | instid1(VALU_DEP_3)
	v_and_or_b32 v18, 0x8000, v19, v18
	v_cmp_lt_i32_e64 s1, 5, v20
	v_cmp_eq_u32_e64 s2, 3, v20
	v_cndmask_b32_e64 v20, 0, 1, s3
	s_delay_alu instid0(VALU_DEP_2) | instskip(NEXT) | instid1(VALU_DEP_1)
	s_or_b32 s1, s2, s1
	v_lshl_or_b32 v20, v20, 9, 0x7c00
	s_wait_alu 0xfffe
	v_add_co_ci_u32_e64 v6, s1, 0, v6, s1
	v_cmp_gt_i32_e64 s1, 31, v22
	s_wait_alu 0xf1ff
	s_delay_alu instid0(VALU_DEP_1) | instskip(SKIP_2) | instid1(VALU_DEP_1)
	v_cndmask_b32_e64 v6, 0x7c00, v6, s1
	v_cmp_eq_u32_e64 s1, 0x40f, v22
	s_wait_alu 0xf1ff
	v_cndmask_b32_e64 v6, v6, v20, s1
	v_add_co_u32 v20, s1, v12, s10
	s_wait_alu 0xf1ff
	v_add_co_ci_u32_e64 v21, s1, s11, v13, s1
	s_delay_alu instid0(VALU_DEP_3) | instskip(SKIP_1) | instid1(VALU_DEP_1)
	v_and_or_b32 v6, 0x8000, v16, v6
	v_and_b32_e32 v16, 0xffff, v18
	v_lshl_or_b32 v6, v6, 16, v16
	global_store_b32 v[12:13], v6, off
	v_cvt_f32_f16_e32 v6, v24
	s_delay_alu instid0(VALU_DEP_1) | instskip(NEXT) | instid1(VALU_DEP_1)
	v_cvt_f64_f32_e32 v[12:13], v6
	v_mul_f64_e32 v[12:13], s[14:15], v[12:13]
	s_delay_alu instid0(VALU_DEP_1) | instskip(SKIP_3) | instid1(VALU_DEP_4)
	v_and_or_b32 v6, 0x1ff, v13, v12
	v_lshrrev_b32_e32 v12, 8, v13
	v_bfe_u32 v18, v13, 20, 11
	v_lshrrev_b32_e32 v13, 16, v13
	v_cmp_ne_u32_e64 s1, 0, v6
	s_wait_alu 0xf1ff
	s_delay_alu instid0(VALU_DEP_1) | instskip(NEXT) | instid1(VALU_DEP_1)
	v_cndmask_b32_e64 v6, 0, 1, s1
	v_and_or_b32 v16, 0xffe, v12, v6
	v_sub_nc_u32_e32 v6, 0x3f1, v18
	s_delay_alu instid0(VALU_DEP_2) | instskip(NEXT) | instid1(VALU_DEP_2)
	v_or_b32_e32 v12, 0x1000, v16
	v_med3_i32 v6, v6, 0, 13
	s_delay_alu instid0(VALU_DEP_1) | instskip(NEXT) | instid1(VALU_DEP_1)
	v_lshrrev_b32_e32 v19, v6, v12
	v_lshlrev_b32_e32 v6, v6, v19
	s_delay_alu instid0(VALU_DEP_1) | instskip(SKIP_1) | instid1(VALU_DEP_1)
	v_cmp_ne_u32_e64 s1, v6, v12
	v_cvt_f32_f16_e32 v6, v11
	v_cvt_f64_f32_e32 v[11:12], v6
	s_delay_alu instid0(VALU_DEP_1) | instskip(NEXT) | instid1(VALU_DEP_1)
	v_mul_f64_e32 v[11:12], s[14:15], v[11:12]
	v_and_or_b32 v6, 0x1ff, v12, v11
	v_lshrrev_b32_e32 v11, 8, v12
	s_delay_alu instid0(VALU_DEP_2) | instskip(SKIP_1) | instid1(VALU_DEP_1)
	v_cmp_ne_u32_e64 s2, 0, v6
	s_wait_alu 0xf1ff
	v_cndmask_b32_e64 v6, 0, 1, s2
	s_delay_alu instid0(VALU_DEP_1) | instskip(SKIP_1) | instid1(VALU_DEP_2)
	v_and_or_b32 v6, 0xffe, v11, v6
	v_bfe_u32 v11, v12, 20, 11
	v_or_b32_e32 v23, 0x1000, v6
	s_delay_alu instid0(VALU_DEP_2) | instskip(SKIP_2) | instid1(VALU_DEP_3)
	v_sub_nc_u32_e32 v22, 0x3f1, v11
	v_add_nc_u32_e32 v11, 0xfffffc10, v11
	v_cmp_ne_u32_e64 s3, 0, v6
	v_med3_i32 v22, v22, 0, 13
	s_delay_alu instid0(VALU_DEP_1) | instskip(NEXT) | instid1(VALU_DEP_1)
	v_lshrrev_b32_e32 v24, v22, v23
	v_lshlrev_b32_e32 v22, v22, v24
	s_delay_alu instid0(VALU_DEP_1) | instskip(SKIP_2) | instid1(VALU_DEP_2)
	v_cmp_ne_u32_e64 s2, v22, v23
	v_lshl_or_b32 v23, v11, 12, v6
	s_wait_alu 0xf1ff
	v_cndmask_b32_e64 v22, 0, 1, s2
	v_cmp_gt_i32_e64 s2, 1, v11
	s_delay_alu instid0(VALU_DEP_2) | instskip(SKIP_1) | instid1(VALU_DEP_1)
	v_or_b32_e32 v22, v24, v22
	s_wait_alu 0xf1ff
	v_cndmask_b32_e64 v22, v23, v22, s2
	v_cndmask_b32_e64 v23, 0, 1, s0
	v_cmp_gt_i32_e64 s0, 1, v15
	s_delay_alu instid0(VALU_DEP_2) | instskip(SKIP_3) | instid1(VALU_DEP_2)
	v_or_b32_e32 v17, v17, v23
	v_lshl_or_b32 v23, v15, 12, v14
	v_cndmask_b32_e64 v14, 0, 1, s3
	s_wait_alu 0xf1ff
	v_cndmask_b32_e64 v17, v23, v17, s0
	v_and_b32_e32 v23, 7, v22
	s_delay_alu instid0(VALU_DEP_3) | instskip(NEXT) | instid1(VALU_DEP_3)
	v_lshl_or_b32 v14, v14, 9, 0x7c00
	v_and_b32_e32 v6, 7, v17
	s_delay_alu instid0(VALU_DEP_3) | instskip(SKIP_1) | instid1(VALU_DEP_3)
	v_cmp_lt_i32_e64 s0, 5, v23
	v_cmp_eq_u32_e64 s2, 3, v23
	v_cmp_lt_i32_e64 s4, 5, v6
	v_cmp_eq_u32_e64 s5, 3, v6
	v_lshrrev_b32_e32 v6, 2, v22
	s_delay_alu instid0(VALU_DEP_4) | instskip(SKIP_1) | instid1(VALU_DEP_1)
	s_or_b32 s0, s2, s0
	s_wait_alu 0xfffe
	v_add_co_ci_u32_e64 v6, s0, 0, v6, s0
	v_cmp_gt_i32_e64 s0, 31, v11
	s_wait_alu 0xf1ff
	s_delay_alu instid0(VALU_DEP_1) | instskip(SKIP_4) | instid1(VALU_DEP_3)
	v_cndmask_b32_e64 v6, 0x7c00, v6, s0
	v_cmp_eq_u32_e64 s0, 0x40f, v11
	v_lshrrev_b32_e32 v11, 16, v12
	v_lshrrev_b32_e32 v12, 2, v17
	s_wait_alu 0xf1ff
	v_cndmask_b32_e64 v6, v6, v14, s0
	s_or_b32 s0, s5, s4
	v_cndmask_b32_e64 v14, 0, 1, s6
	s_wait_alu 0xfffe
	v_add_co_ci_u32_e64 v12, s0, 0, v12, s0
	v_cmp_gt_i32_e64 s0, 31, v15
	v_and_or_b32 v6, 0x8000, v11, v6
	v_lshl_or_b32 v14, v14, 9, 0x7c00
	s_wait_alu 0xf1ff
	s_delay_alu instid0(VALU_DEP_3) | instskip(SKIP_3) | instid1(VALU_DEP_2)
	v_cndmask_b32_e64 v12, 0x7c00, v12, s0
	v_cmp_eq_u32_e64 s0, 0x40f, v15
	v_and_b32_e32 v6, 0xffff, v6
	s_wait_alu 0xf1ff
	v_cndmask_b32_e64 v12, v12, v14, s0
	v_add_co_u32 v11, s0, v20, s10
	s_delay_alu instid0(VALU_DEP_2) | instskip(SKIP_2) | instid1(VALU_DEP_2)
	v_and_or_b32 v10, 0x8000, v10, v12
	s_wait_alu 0xf1ff
	v_add_co_ci_u32_e64 v12, s0, s11, v21, s0
	v_lshl_or_b32 v6, v10, 16, v6
	global_store_b32 v[20:21], v6, off
	v_cvt_f32_f16_e32 v6, v25
	s_delay_alu instid0(VALU_DEP_1) | instskip(NEXT) | instid1(VALU_DEP_1)
	v_cvt_f64_f32_e32 v[14:15], v6
	v_mul_f64_e32 v[14:15], s[14:15], v[14:15]
	s_delay_alu instid0(VALU_DEP_1) | instskip(SKIP_3) | instid1(VALU_DEP_4)
	v_and_or_b32 v6, 0x1ff, v15, v14
	v_lshrrev_b32_e32 v10, 8, v15
	v_bfe_u32 v17, v15, 20, 11
	v_lshrrev_b32_e32 v15, 16, v15
	v_cmp_ne_u32_e64 s0, 0, v6
	s_wait_alu 0xf1ff
	s_delay_alu instid0(VALU_DEP_1) | instskip(NEXT) | instid1(VALU_DEP_1)
	v_cndmask_b32_e64 v6, 0, 1, s0
	v_and_or_b32 v10, 0xffe, v10, v6
	v_sub_nc_u32_e32 v6, 0x3f1, v17
	s_delay_alu instid0(VALU_DEP_2) | instskip(NEXT) | instid1(VALU_DEP_2)
	v_or_b32_e32 v14, 0x1000, v10
	v_med3_i32 v6, v6, 0, 13
	s_delay_alu instid0(VALU_DEP_1) | instskip(NEXT) | instid1(VALU_DEP_1)
	v_lshrrev_b32_e32 v22, v6, v14
	v_lshlrev_b32_e32 v6, v6, v22
	s_delay_alu instid0(VALU_DEP_1) | instskip(SKIP_2) | instid1(VALU_DEP_1)
	v_cmp_ne_u32_e64 s0, v6, v14
	v_lshrrev_b32_e32 v6, 16, v7
	v_lshrrev_b32_e32 v14, 16, v98
	v_mul_f16_e32 v23, v14, v6
	v_mul_f16_e32 v14, v14, v7
	s_delay_alu instid0(VALU_DEP_2) | instskip(NEXT) | instid1(VALU_DEP_2)
	v_fmac_f16_e32 v23, v98, v7
	v_fma_f16 v14, v98, v6, -v14
	v_mul_f16_e32 v6, v29, v26
	s_delay_alu instid0(VALU_DEP_1) | instskip(NEXT) | instid1(VALU_DEP_1)
	v_fmac_f16_e32 v6, v90, v4
	v_cvt_f32_f16_e32 v4, v6
	s_delay_alu instid0(VALU_DEP_1) | instskip(NEXT) | instid1(VALU_DEP_1)
	v_cvt_f64_f32_e32 v[6:7], v4
	v_mul_f64_e32 v[20:21], s[14:15], v[6:7]
	s_delay_alu instid0(VALU_DEP_1) | instskip(SKIP_1) | instid1(VALU_DEP_2)
	v_and_or_b32 v4, 0x1ff, v21, v20
	v_lshrrev_b32_e32 v6, 8, v21
	v_cmp_ne_u32_e64 s2, 0, v4
	s_wait_alu 0xf1ff
	s_delay_alu instid0(VALU_DEP_1) | instskip(NEXT) | instid1(VALU_DEP_1)
	v_cndmask_b32_e64 v4, 0, 1, s2
	v_and_or_b32 v4, 0xffe, v6, v4
	v_bfe_u32 v6, v21, 20, 11
	s_delay_alu instid0(VALU_DEP_2) | instskip(NEXT) | instid1(VALU_DEP_2)
	v_or_b32_e32 v20, 0x1000, v4
	v_sub_nc_u32_e32 v7, 0x3f1, v6
	v_cmp_ne_u32_e64 s4, 0, v4
	s_delay_alu instid0(VALU_DEP_2) | instskip(NEXT) | instid1(VALU_DEP_1)
	v_med3_i32 v7, v7, 0, 13
	v_lshrrev_b32_e32 v24, v7, v20
	s_delay_alu instid0(VALU_DEP_1) | instskip(NEXT) | instid1(VALU_DEP_1)
	v_lshlrev_b32_e32 v7, v7, v24
	v_cmp_ne_u32_e64 s2, v7, v20
	v_add_nc_u32_e32 v20, 0xfffffc10, v6
	s_wait_alu 0xf1ff
	s_delay_alu instid0(VALU_DEP_2) | instskip(NEXT) | instid1(VALU_DEP_2)
	v_cndmask_b32_e64 v7, 0, 1, s2
	v_lshl_or_b32 v6, v20, 12, v4
	v_cmp_gt_i32_e64 s2, 1, v20
	s_wait_alu 0xfffd
	v_cndmask_b32_e64 v4, 0, 1, vcc_lo
	v_cmp_gt_i32_e32 vcc_lo, 1, v3
	v_or_b32_e32 v7, v24, v7
	s_delay_alu instid0(VALU_DEP_3) | instskip(SKIP_2) | instid1(VALU_DEP_3)
	v_or_b32_e32 v4, v8, v4
	v_cndmask_b32_e64 v8, 0, 1, s4
	s_wait_alu 0xf1ff
	v_cndmask_b32_e64 v24, v6, v7, s2
	ds_load_2addr_b32 v[6:7], v101 offset0:104 offset1:229
	v_lshl_or_b32 v8, v8, 9, 0x7c00
	s_wait_dscnt 0x0
	v_lshrrev_b32_e32 v25, 16, v6
	v_mul_f16_e32 v26, v27, v6
	s_delay_alu instid0(VALU_DEP_2) | instskip(NEXT) | instid1(VALU_DEP_2)
	v_mul_f16_e32 v27, v27, v25
	v_fma_f16 v25, v99, v25, -v26
	v_lshrrev_b32_e32 v26, 16, v92
	s_delay_alu instid0(VALU_DEP_3) | instskip(SKIP_1) | instid1(VALU_DEP_1)
	v_fmac_f16_e32 v27, v99, v6
	v_and_b32_e32 v6, 7, v24
	v_cmp_lt_i32_e64 s2, 5, v6
	v_cmp_eq_u32_e64 s3, 3, v6
	v_lshl_or_b32 v6, v3, 12, v1
	s_wait_alu 0xfffd
	s_delay_alu instid0(VALU_DEP_1)
	v_cndmask_b32_e32 v4, v6, v4, vcc_lo
	v_lshrrev_b32_e32 v6, 2, v24
	s_or_b32 vcc_lo, s3, s2
	v_cmp_ne_u32_e64 s3, 0, v1
	v_lshrrev_b32_e32 v24, 16, v5
	v_lshrrev_b32_e32 v1, 2, v4
	s_wait_alu 0xfffe
	v_add_co_ci_u32_e32 v6, vcc_lo, 0, v6, vcc_lo
	v_cmp_gt_i32_e32 vcc_lo, 31, v20
	s_wait_alu 0xfffd
	s_delay_alu instid0(VALU_DEP_2)
	v_cndmask_b32_e32 v6, 0x7c00, v6, vcc_lo
	v_cmp_eq_u32_e32 vcc_lo, 0x40f, v20
	v_and_b32_e32 v20, 7, v4
	s_wait_alu 0xf1ff
	v_cndmask_b32_e64 v4, 0, 1, s3
	s_wait_alu 0xfffd
	v_cndmask_b32_e32 v6, v6, v8, vcc_lo
	v_cmp_lt_i32_e32 vcc_lo, 5, v20
	v_cmp_eq_u32_e64 s2, 3, v20
	v_lshl_or_b32 v4, v4, 9, 0x7c00
	v_lshrrev_b32_e32 v8, 16, v21
	s_delay_alu instid0(VALU_DEP_3)
	s_or_b32 vcc_lo, s2, vcc_lo
	s_wait_alu 0xfffe
	v_add_co_ci_u32_e32 v1, vcc_lo, 0, v1, vcc_lo
	v_cmp_gt_i32_e32 vcc_lo, 31, v3
	v_and_or_b32 v6, 0x8000, v8, v6
	s_wait_alu 0xfffd
	s_delay_alu instid0(VALU_DEP_3) | instskip(SKIP_3) | instid1(VALU_DEP_3)
	v_cndmask_b32_e32 v1, 0x7c00, v1, vcc_lo
	v_cmp_eq_u32_e32 vcc_lo, 0x40f, v3
	v_cvt_f32_f16_e32 v3, v27
	s_wait_alu 0xfffd
	v_dual_cndmask_b32 v1, v1, v4 :: v_dual_and_b32 v6, 0xffff, v6
	s_delay_alu instid0(VALU_DEP_2) | instskip(NEXT) | instid1(VALU_DEP_2)
	v_cvt_f64_f32_e32 v[3:4], v3
	v_and_or_b32 v1, 0x8000, v9, v1
	v_add_nc_u32_e32 v9, 0xfffffc10, v17
	s_delay_alu instid0(VALU_DEP_2) | instskip(NEXT) | instid1(VALU_DEP_2)
	v_lshl_or_b32 v1, v1, 16, v6
	v_lshl_or_b32 v17, v9, 12, v10
	global_store_b32 v[11:12], v1, off
	v_mul_f64_e32 v[20:21], s[14:15], v[3:4]
	s_delay_alu instid0(VALU_DEP_1) | instskip(SKIP_1) | instid1(VALU_DEP_2)
	v_and_or_b32 v3, 0x1ff, v21, v20
	v_lshrrev_b32_e32 v4, 8, v21
	v_cmp_ne_u32_e32 vcc_lo, 0, v3
	s_wait_alu 0xfffd
	v_cndmask_b32_e64 v3, 0, 1, vcc_lo
	s_delay_alu instid0(VALU_DEP_1) | instskip(SKIP_2) | instid1(VALU_DEP_2)
	v_and_or_b32 v20, 0xffe, v4, v3
	v_cndmask_b32_e64 v3, 0, 1, s1
	v_add_nc_u32_e32 v4, 0xfffffc10, v18
	v_or_b32_e32 v3, v19, v3
	s_delay_alu instid0(VALU_DEP_2) | instskip(SKIP_2) | instid1(VALU_DEP_2)
	v_lshl_or_b32 v8, v4, 12, v16
	v_cmp_gt_i32_e32 vcc_lo, 1, v4
	s_wait_alu 0xfffd
	v_cndmask_b32_e32 v3, v8, v3, vcc_lo
	v_cndmask_b32_e64 v8, 0, 1, s0
	v_cmp_gt_i32_e32 vcc_lo, 1, v9
	s_delay_alu instid0(VALU_DEP_2) | instskip(SKIP_1) | instid1(VALU_DEP_1)
	v_or_b32_e32 v8, v22, v8
	s_wait_alu 0xfffd
	v_dual_cndmask_b32 v8, v17, v8 :: v_dual_and_b32 v17, 7, v3
	v_lshrrev_b32_e32 v3, 2, v3
	s_delay_alu instid0(VALU_DEP_2) | instskip(SKIP_1) | instid1(VALU_DEP_4)
	v_cmp_lt_i32_e32 vcc_lo, 5, v17
	v_cmp_eq_u32_e64 s0, 3, v17
	v_and_b32_e32 v17, 7, v8
	v_lshrrev_b32_e32 v8, 2, v8
	s_delay_alu instid0(VALU_DEP_3) | instskip(NEXT) | instid1(VALU_DEP_2)
	s_or_b32 vcc_lo, s0, vcc_lo
	v_cmp_lt_i32_e64 s1, 5, v17
	s_wait_alu 0xfffe
	v_add_co_ci_u32_e32 v3, vcc_lo, 0, v3, vcc_lo
	v_cmp_ne_u32_e32 vcc_lo, 0, v16
	v_cmp_eq_u32_e64 s2, 3, v17
	v_cvt_f32_f16_e32 v17, v25
	s_wait_alu 0xfffd
	v_cndmask_b32_e64 v16, 0, 1, vcc_lo
	v_cmp_gt_i32_e32 vcc_lo, 31, v4
	s_delay_alu instid0(VALU_DEP_2)
	v_lshl_or_b32 v19, v16, 9, 0x7c00
	s_wait_alu 0xfffd
	v_cndmask_b32_e32 v18, 0x7c00, v3, vcc_lo
	v_cmp_eq_u32_e32 vcc_lo, 0x40f, v4
	v_cvt_f64_f32_e32 v[3:4], v17
	s_wait_alu 0xfffd
	s_delay_alu instid0(VALU_DEP_3)
	v_cndmask_b32_e32 v18, v18, v19, vcc_lo
	s_or_b32 vcc_lo, s2, s1
	v_bfe_u32 v19, v21, 20, 11
	s_wait_alu 0xfffe
	v_add_co_ci_u32_e32 v8, vcc_lo, 0, v8, vcc_lo
	v_cmp_ne_u32_e32 vcc_lo, 0, v10
	v_and_or_b32 v13, 0x8000, v13, v18
	s_wait_alu 0xfffd
	v_cndmask_b32_e64 v10, 0, 1, vcc_lo
	v_cmp_gt_i32_e32 vcc_lo, 31, v9
	s_delay_alu instid0(VALU_DEP_2)
	v_lshl_or_b32 v10, v10, 9, 0x7c00
	s_wait_alu 0xfffd
	v_cndmask_b32_e32 v8, 0x7c00, v8, vcc_lo
	v_cmp_eq_u32_e32 vcc_lo, 0x40f, v9
	v_sub_nc_u32_e32 v9, 0x3f1, v19
	s_wait_alu 0xfffd
	s_delay_alu instid0(VALU_DEP_3) | instskip(NEXT) | instid1(VALU_DEP_2)
	v_dual_cndmask_b32 v8, v8, v10 :: v_dual_add_nc_u32 v19, 0xfffffc10, v19
	v_med3_i32 v22, v9, 0, 13
	v_mul_f64_e32 v[16:17], s[14:15], v[3:4]
	v_cvt_f32_f16_e32 v3, v23
	v_or_b32_e32 v23, 0x1000, v20
	s_delay_alu instid0(VALU_DEP_2) | instskip(NEXT) | instid1(VALU_DEP_4)
	v_cvt_f64_f32_e32 v[3:4], v3
	v_and_or_b32 v9, 0x1ff, v17, v16
	v_bfe_u32 v1, v17, 20, 11
	s_delay_alu instid0(VALU_DEP_2) | instskip(NEXT) | instid1(VALU_DEP_4)
	v_cmp_ne_u32_e32 vcc_lo, 0, v9
	v_mul_f64_e32 v[9:10], s[14:15], v[3:4]
	v_and_or_b32 v3, 0x8000, v15, v8
	v_and_b32_e32 v4, 0xffff, v13
	v_lshrrev_b32_e32 v8, 8, v17
	s_wait_alu 0xfffd
	v_cndmask_b32_e64 v18, 0, 1, vcc_lo
	v_add_co_u32 v15, vcc_lo, v11, s8
	v_lshl_or_b32 v6, v3, 16, v4
	ds_load_2addr_b32 v[3:4], v96 offset0:74 offset1:199
	s_wait_alu 0xfffd
	v_add_co_ci_u32_e32 v16, vcc_lo, s9, v12, vcc_lo
	v_add_co_u32 v11, vcc_lo, v15, s10
	v_lshrrev_b32_e32 v13, v22, v23
	global_store_b32 v[15:16], v6, off
	s_wait_alu 0xfffd
	v_add_co_ci_u32_e32 v12, vcc_lo, s11, v16, vcc_lo
	v_sub_nc_u32_e32 v6, 0x3f1, v1
	v_lshrrev_b32_e32 v16, 16, v95
	v_and_or_b32 v18, 0xffe, v8, v18
	v_lshlrev_b32_e32 v8, v22, v13
	v_add_nc_u32_e32 v1, 0xfffffc10, v1
	v_med3_i32 v15, v6, 0, 13
	v_mul_f16_e32 v25, v16, v24
	v_cvt_f32_f16_e32 v6, v14
	v_mul_f16_e32 v22, v16, v5
	v_cmp_ne_u32_e32 vcc_lo, v8, v23
	v_lshrrev_b32_e32 v17, 16, v17
	v_fmac_f16_e32 v25, v95, v5
	s_wait_dscnt 0x0
	v_lshrrev_b32_e32 v14, 16, v3
	v_mul_f16_e32 v16, v26, v3
	v_cvt_f64_f32_e32 v[5:6], v6
	s_wait_alu 0xfffd
	v_cndmask_b32_e64 v8, 0, 1, vcc_lo
	v_cmp_gt_i32_e32 vcc_lo, 1, v19
	v_mul_f16_e32 v23, v26, v14
	v_fma_f16 v14, v92, v14, -v16
	v_or_b32_e32 v16, 0x1000, v18
	v_or_b32_e32 v8, v13, v8
	v_lshl_or_b32 v13, v19, 12, v20
	v_fmac_f16_e32 v23, v92, v3
	v_and_or_b32 v3, 0x1ff, v10, v9
	v_lshrrev_b32_e32 v26, v15, v16
	v_cvt_f32_f16_e32 v14, v14
	s_wait_alu 0xfffd
	v_cndmask_b32_e32 v13, v13, v8, vcc_lo
	v_cvt_f32_f16_e32 v9, v23
	v_cmp_ne_u32_e32 vcc_lo, 0, v3
	v_lshlrev_b32_e32 v8, v15, v26
	v_fma_f16 v22, v95, v24, -v22
	v_and_b32_e32 v15, 7, v13
	v_lshrrev_b32_e32 v13, 2, v13
	s_wait_alu 0xfffd
	v_cndmask_b32_e64 v3, 0, 1, vcc_lo
	v_cmp_ne_u32_e32 vcc_lo, v8, v16
	v_lshrrev_b32_e32 v8, 8, v10
	v_cmp_lt_i32_e64 s0, 5, v15
	v_cmp_eq_u32_e64 s1, 3, v15
	v_lshl_or_b32 v16, v1, 12, v18
	s_wait_alu 0xfffd
	v_cndmask_b32_e64 v15, 0, 1, vcc_lo
	v_and_or_b32 v3, 0xffe, v8, v3
	v_cvt_f64_f32_e32 v[8:9], v9
	v_cmp_gt_i32_e32 vcc_lo, 1, v1
	s_delay_alu instid0(VALU_DEP_4) | instskip(SKIP_2) | instid1(VALU_DEP_2)
	v_or_b32_e32 v15, v26, v15
	v_bfe_u32 v26, v10, 20, 11
	s_wait_alu 0xfffd
	v_cndmask_b32_e32 v23, v16, v15, vcc_lo
	v_cvt_f64_f32_e32 v[15:16], v14
	s_or_b32 vcc_lo, s1, s0
	v_mul_f64_e32 v[5:6], s[14:15], v[5:6]
	s_wait_alu 0xfffe
	v_add_co_ci_u32_e32 v13, vcc_lo, 0, v13, vcc_lo
	v_cmp_ne_u32_e32 vcc_lo, 0, v20
	s_wait_alu 0xfffd
	v_cndmask_b32_e64 v20, 0, 1, vcc_lo
	v_cmp_gt_i32_e32 vcc_lo, 31, v19
	s_delay_alu instid0(VALU_DEP_2) | instskip(SKIP_4) | instid1(VALU_DEP_2)
	v_lshl_or_b32 v14, v20, 9, 0x7c00
	s_wait_alu 0xfffd
	v_cndmask_b32_e32 v13, 0x7c00, v13, vcc_lo
	v_cmp_eq_u32_e32 vcc_lo, 0x40f, v19
	s_wait_alu 0xfffd
	v_dual_cndmask_b32 v20, v13, v14 :: v_dual_and_b32 v19, 7, v23
	s_delay_alu instid0(VALU_DEP_1) | instskip(SKIP_4) | instid1(VALU_DEP_4)
	v_cmp_lt_i32_e32 vcc_lo, 5, v19
	v_cmp_eq_u32_e64 s0, 3, v19
	v_sub_nc_u32_e32 v19, 0x3f1, v26
	v_mul_f64_e32 v[13:14], s[14:15], v[8:9]
	v_lshrrev_b32_e32 v8, 2, v23
	s_or_b32 vcc_lo, s0, vcc_lo
	s_delay_alu instid0(VALU_DEP_3)
	v_med3_i32 v9, v19, 0, 13
	v_lshrrev_b32_e32 v19, 16, v21
	v_or_b32_e32 v21, 0x1000, v3
	s_wait_alu 0xfffe
	v_add_co_ci_u32_e32 v8, vcc_lo, 0, v8, vcc_lo
	v_cmp_ne_u32_e32 vcc_lo, 0, v18
	v_mul_f64_e32 v[15:16], s[14:15], v[15:16]
	v_and_or_b32 v5, 0x1ff, v6, v5
	v_bfe_u32 v23, v6, 20, 11
	s_wait_alu 0xfffd
	v_cndmask_b32_e64 v18, 0, 1, vcc_lo
	v_cmp_gt_i32_e32 vcc_lo, 31, v1
	v_cmp_ne_u32_e64 s0, 0, v5
	s_delay_alu instid0(VALU_DEP_3)
	v_lshl_or_b32 v18, v18, 9, 0x7c00
	s_wait_alu 0xfffd
	v_cndmask_b32_e32 v8, 0x7c00, v8, vcc_lo
	v_cmp_eq_u32_e32 vcc_lo, 0x40f, v1
	s_wait_alu 0xf1ff
	v_cndmask_b32_e64 v1, 0, 1, s0
	s_wait_alu 0xfffd
	v_cndmask_b32_e32 v5, v8, v18, vcc_lo
	v_lshrrev_b32_e32 v8, 8, v6
	v_and_or_b32 v18, 0x8000, v19, v20
	v_lshrrev_b32_e32 v19, 16, v100
	v_lshrrev_b32_e32 v20, v9, v21
	v_and_or_b32 v5, 0x8000, v17, v5
	v_and_or_b32 v27, 0xffe, v8, v1
	v_sub_nc_u32_e32 v1, 0x3f1, v23
	v_and_b32_e32 v8, 0xffff, v18
	v_lshrrev_b32_e32 v17, 16, v2
	v_mul_f16_e32 v18, v19, v2
	v_lshlrev_b32_e32 v24, v9, v20
	v_med3_i32 v28, v1, 0, 13
	v_lshl_or_b32 v1, v5, 16, v8
	v_and_or_b32 v8, 0x1ff, v14, v13
	v_fma_f16 v5, v100, v17, -v18
	v_mul_f16_e32 v13, v19, v17
	v_cvt_f32_f16_e32 v9, v25
	global_store_b32 v[11:12], v1, off
	v_cmp_ne_u32_e32 vcc_lo, 0, v8
	v_cvt_f32_f16_e32 v5, v5
	v_fmac_f16_e32 v13, v100, v2
	v_or_b32_e32 v29, 0x1000, v27
	v_cvt_f64_f32_e32 v[8:9], v9
	s_wait_alu 0xfffd
	v_cndmask_b32_e64 v25, 0, 1, vcc_lo
	v_cvt_f64_f32_e32 v[1:2], v5
	v_add_co_u32 v18, vcc_lo, v11, s10
	s_wait_alu 0xfffd
	v_add_co_ci_u32_e32 v19, vcc_lo, s11, v12, vcc_lo
	v_cmp_ne_u32_e32 vcc_lo, v24, v21
	v_and_or_b32 v12, 0x1ff, v16, v15
	v_lshrrev_b32_e32 v5, 8, v14
	v_add_nc_u32_e32 v24, 0xfffffc10, v26
	v_lshrrev_b32_e32 v17, v28, v29
	s_wait_alu 0xfffd
	v_cndmask_b32_e64 v11, 0, 1, vcc_lo
	v_cmp_ne_u32_e32 vcc_lo, 0, v12
	v_and_or_b32 v25, 0xffe, v5, v25
	v_bfe_u32 v26, v14, 20, 11
	v_cvt_f32_f16_e32 v13, v13
	v_or_b32_e32 v5, v20, v11
	v_lshl_or_b32 v11, v24, 12, v3
	s_wait_alu 0xfffd
	v_cndmask_b32_e64 v12, 0, 1, vcc_lo
	v_cmp_gt_i32_e32 vcc_lo, 1, v24
	v_lshlrev_b32_e32 v20, v28, v17
	v_sub_nc_u32_e32 v15, 0x3f1, v26
	v_lshrrev_b32_e32 v6, 16, v6
	v_lshrrev_b32_e32 v14, 16, v14
	s_wait_alu 0xfffd
	v_cndmask_b32_e32 v5, v11, v5, vcc_lo
	v_lshrrev_b32_e32 v11, 8, v16
	v_cmp_ne_u32_e32 vcc_lo, v20, v29
	v_med3_i32 v28, v15, 0, 13
	v_cvt_f64_f32_e32 v[20:21], v13
	v_bfe_u32 v29, v16, 20, 11
	v_and_or_b32 v30, 0xffe, v11, v12
	v_and_b32_e32 v11, 7, v5
	v_cvt_f32_f16_e32 v12, v22
	s_wait_alu 0xfffd
	v_cndmask_b32_e64 v15, 0, 1, vcc_lo
	v_add_nc_u32_e32 v22, 0xfffffc10, v23
	v_lshrrev_b32_e32 v5, 2, v5
	v_cmp_lt_i32_e32 vcc_lo, 5, v11
	v_cmp_eq_u32_e64 s0, 3, v11
	v_cvt_f64_f32_e32 v[11:12], v12
	v_or_b32_e32 v15, v17, v15
	v_lshl_or_b32 v17, v22, 12, v27
	v_mul_f64_e32 v[1:2], s[14:15], v[1:2]
	v_cmp_gt_i32_e64 s1, 1, v22
	s_or_b32 vcc_lo, s0, vcc_lo
	v_mul_f64_e32 v[8:9], s[14:15], v[8:9]
	s_wait_alu 0xfffe
	v_add_co_ci_u32_e32 v5, vcc_lo, 0, v5, vcc_lo
	v_cndmask_b32_e64 v15, v17, v15, s1
	v_cmp_ne_u32_e32 vcc_lo, 0, v3
	v_cmp_eq_u32_e64 s1, 0x40f, v24
	v_or_b32_e32 v23, 0x1000, v25
	v_lshrrev_b32_e32 v16, 16, v16
	v_and_b32_e32 v17, 7, v15
	s_wait_alu 0xfffd
	v_cndmask_b32_e64 v3, 0, 1, vcc_lo
	v_cmp_gt_i32_e32 vcc_lo, 31, v24
	v_lshrrev_b32_e32 v13, 2, v15
	v_cmp_eq_u32_e64 s0, 3, v17
	s_delay_alu instid0(VALU_DEP_4)
	v_lshl_or_b32 v3, v3, 9, 0x7c00
	s_wait_alu 0xfffd
	v_cndmask_b32_e32 v5, 0x7c00, v5, vcc_lo
	v_cmp_lt_i32_e32 vcc_lo, 5, v17
	v_lshrrev_b32_e32 v17, 16, v7
	s_wait_alu 0xf1ff
	s_delay_alu instid0(VALU_DEP_3)
	v_cndmask_b32_e64 v3, v5, v3, s1
	s_or_b32 vcc_lo, s0, vcc_lo
	v_sub_nc_u32_e32 v5, 0x3f1, v29
	s_wait_alu 0xfffe
	v_add_co_ci_u32_e32 v13, vcc_lo, 0, v13, vcc_lo
	v_cmp_ne_u32_e32 vcc_lo, 0, v27
	v_lshrrev_b32_e32 v27, v28, v23
	v_med3_i32 v24, v5, 0, 13
	v_lshrrev_b32_e32 v5, 16, v10
	s_wait_alu 0xfffd
	v_cndmask_b32_e64 v15, 0, 1, vcc_lo
	v_cmp_gt_i32_e32 vcc_lo, 31, v22
	v_mul_f64_e32 v[10:11], s[14:15], v[11:12]
	v_and_or_b32 v3, 0x8000, v5, v3
	s_delay_alu instid0(VALU_DEP_4)
	v_lshl_or_b32 v15, v15, 9, 0x7c00
	s_wait_alu 0xfffd
	v_cndmask_b32_e32 v13, 0x7c00, v13, vcc_lo
	v_cmp_eq_u32_e32 vcc_lo, 0x40f, v22
	v_and_or_b32 v1, 0x1ff, v2, v1
	v_and_or_b32 v32, 0x1ff, v9, v8
	v_or_b32_e32 v22, 0x1000, v30
	s_wait_alu 0xfffd
	v_cndmask_b32_e32 v12, v13, v15, vcc_lo
	v_lshrrev_b32_e32 v15, 16, v103
	v_cmp_ne_u32_e32 vcc_lo, 0, v1
	v_lshrrev_b32_e32 v31, v24, v22
	s_delay_alu instid0(VALU_DEP_4) | instskip(NEXT) | instid1(VALU_DEP_4)
	v_and_or_b32 v5, 0x8000, v6, v12
	v_mul_f16_e32 v13, v15, v17
	v_mul_f16_e32 v15, v15, v7
	v_and_b32_e32 v6, 0xffff, v3
	s_wait_alu 0xfffd
	v_cndmask_b32_e64 v1, 0, 1, vcc_lo
	v_bfe_u32 v3, v2, 20, 11
	v_fmac_f16_e32 v13, v103, v7
	v_lshrrev_b32_e32 v7, 8, v2
	v_lshl_or_b32 v12, v5, 16, v6
	v_mul_f64_e32 v[5:6], s[14:15], v[20:21]
	v_fma_f16 v17, v103, v17, -v15
	v_cvt_f32_f16_e32 v13, v13
	v_and_or_b32 v1, 0xffe, v7, v1
	v_sub_nc_u32_e32 v7, 0x3f1, v3
	global_store_b32 v[18:19], v12, off
	v_lshlrev_b32_e32 v21, v28, v27
	v_lshlrev_b32_e32 v24, v24, v31
	v_or_b32_e32 v20, 0x1000, v1
	v_med3_i32 v12, v7, 0, 13
	v_add_co_u32 v7, vcc_lo, v18, s10
	s_wait_alu 0xfffd
	v_add_co_ci_u32_e32 v8, vcc_lo, s11, v19, vcc_lo
	s_delay_alu instid0(VALU_DEP_3)
	v_lshrrev_b32_e32 v15, v12, v20
	v_cmp_ne_u32_e32 vcc_lo, 0, v32
	v_lshrrev_b32_e32 v19, 8, v9
	v_and_or_b32 v10, 0x1ff, v11, v10
	v_cmp_ne_u32_e64 s0, v21, v23
	v_lshlrev_b32_e32 v12, v12, v15
	s_wait_alu 0xfffd
	v_cndmask_b32_e64 v18, 0, 1, vcc_lo
	v_bfe_u32 v28, v9, 20, 11
	v_lshrrev_b32_e32 v32, 16, v111
	v_cvt_f32_f16_e32 v17, v17
	v_cmp_ne_u32_e32 vcc_lo, v12, v20
	v_cvt_f64_f32_e32 v[12:13], v13
	v_and_or_b32 v19, 0xffe, v19, v18
	s_wait_alu 0xf1ff
	v_cndmask_b32_e64 v18, 0, 1, s0
	v_cmp_ne_u32_e64 s0, 0, v10
	v_add_nc_u32_e32 v20, 0xfffffc10, v26
	v_lshrrev_b32_e32 v26, 8, v11
	v_sub_nc_u32_e32 v21, 0x3f1, v28
	v_or_b32_e32 v18, v27, v18
	s_wait_alu 0xf1ff
	v_cndmask_b32_e64 v10, 0, 1, s0
	v_cmp_ne_u32_e64 s0, v24, v22
	v_lshl_or_b32 v23, v20, 12, v25
	v_add_nc_u32_e32 v24, 0xfffffc10, v29
	v_med3_i32 v21, v21, 0, 13
	v_and_or_b32 v5, 0x1ff, v6, v5
	s_wait_alu 0xf1ff
	v_cndmask_b32_e64 v22, 0, 1, s0
	v_cmp_gt_i32_e64 s0, 1, v20
	v_lshl_or_b32 v27, v24, 12, v30
	v_lshrrev_b32_e32 v9, 16, v9
	v_add_nc_u32_e32 v3, 0xfffffc10, v3
	v_or_b32_e32 v22, v31, v22
	s_wait_alu 0xf1ff
	v_cndmask_b32_e64 v23, v23, v18, s0
	v_cmp_gt_i32_e64 s0, 1, v24
	v_and_or_b32 v18, 0xffe, v26, v10
	v_lshrrev_b32_e32 v26, 8, v6
	v_lshrrev_b32_e32 v2, 16, v2
	v_and_b32_e32 v10, 7, v23
	s_wait_alu 0xf1ff
	v_cndmask_b32_e64 v22, v27, v22, s0
	v_cmp_ne_u32_e64 s0, 0, v5
	v_lshrrev_b32_e32 v23, 2, v23
	v_bfe_u32 v27, v11, 20, 11
	v_cmp_eq_u32_e64 s1, 3, v10
	v_or_b32_e32 v31, 0x1000, v18
	s_wait_alu 0xf1ff
	v_cndmask_b32_e64 v5, 0, 1, s0
	v_cmp_lt_i32_e64 s0, 5, v10
	v_and_b32_e32 v10, 7, v22
	v_lshrrev_b32_e32 v22, 2, v22
	v_add_nc_u32_e32 v36, 0xfffffc10, v27
	v_and_or_b32 v5, 0xffe, v26, v5
	v_mul_f64_e32 v[12:13], s[14:15], v[12:13]
	s_or_b32 s0, s1, s0
	v_cmp_gt_i32_e64 s1, 31, v20
	s_wait_alu 0xfffe
	v_add_co_ci_u32_e64 v23, s0, 0, v23, s0
	v_cmp_ne_u32_e64 s0, 0, v25
	v_cmp_lt_i32_e64 s2, 5, v10
	v_or_b32_e32 v26, 0x1000, v19
	s_wait_alu 0xf1ff
	s_delay_alu instid0(VALU_DEP_3) | instskip(SKIP_3) | instid1(VALU_DEP_4)
	v_cndmask_b32_e64 v25, 0, 1, s0
	v_cmp_eq_u32_e64 s0, 3, v10
	v_cndmask_b32_e64 v10, 0x7c00, v23, s1
	v_cmp_eq_u32_e64 s1, 0x40f, v20
	v_lshl_or_b32 v23, v25, 9, 0x7c00
	s_delay_alu instid0(VALU_DEP_4) | instskip(SKIP_1) | instid1(VALU_DEP_2)
	s_or_b32 s0, s0, s2
	v_lshrrev_b32_e32 v25, v21, v26
	v_cndmask_b32_e64 v20, v10, v23, s1
	s_wait_alu 0xfffe
	v_add_co_ci_u32_e64 v10, s0, 0, v22, s0
	v_cmp_ne_u32_e64 s0, 0, v30
	v_sub_nc_u32_e32 v23, 0x3f1, v27
	v_lshlrev_b32_e32 v33, v21, v25
	v_and_or_b32 v20, 0x8000, v14, v20
	v_or_b32_e32 v14, 0x1000, v5
	s_wait_alu 0xf1ff
	v_cndmask_b32_e64 v22, 0, 1, s0
	v_cmp_gt_i32_e64 s0, 31, v24
	v_med3_i32 v23, v23, 0, 13
	v_and_b32_e32 v20, 0xffff, v20
	v_lshl_or_b32 v27, v36, 12, v18
	v_lshl_or_b32 v22, v22, 9, 0x7c00
	s_wait_alu 0xf1ff
	v_cndmask_b32_e64 v29, 0x7c00, v10, s0
	v_cmp_eq_u32_e64 s0, 0x40f, v24
	v_lshrrev_b32_e32 v24, 16, v0
	v_bfe_u32 v10, v6, 20, 11
	v_and_or_b32 v12, 0x1ff, v13, v12
	v_bfe_u32 v35, v13, 20, 11
	s_wait_alu 0xf1ff
	v_cndmask_b32_e64 v22, v29, v22, s0
	v_mul_f16_e32 v30, v32, v24
	v_sub_nc_u32_e32 v29, 0x3f1, v10
	v_cmp_ne_u32_e64 s0, 0, v12
	v_add_nc_u32_e32 v10, 0xfffffc10, v10
	v_and_or_b32 v16, 0x8000, v16, v22
	v_mul_f16_e32 v22, v32, v0
	v_lshrrev_b32_e32 v32, v23, v31
	s_wait_alu 0xf1ff
	v_cndmask_b32_e64 v12, 0, 1, s0
	v_cmp_ne_u32_e64 s0, v33, v26
	v_fmac_f16_e32 v30, v111, v0
	v_fma_f16 v24, v111, v24, -v22
	v_lshlrev_b32_e32 v23, v23, v32
	v_add_nc_u32_e32 v33, 0xfffffc10, v28
	s_wait_alu 0xf1ff
	v_cndmask_b32_e64 v22, 0, 1, s0
	v_lshl_or_b32 v16, v16, 16, v20
	v_cvt_f32_f16_e32 v20, v30
	v_cmp_ne_u32_e64 s0, v23, v31
	v_med3_i32 v29, v29, 0, 13
	v_or_b32_e32 v22, v25, v22
	v_lshl_or_b32 v25, v33, 12, v19
	ds_load_b32 v28, v87 offset:12000
	s_wait_alu 0xf1ff
	v_cndmask_b32_e64 v23, 0, 1, s0
	v_cmp_gt_i32_e64 s0, 1, v33
	v_cvt_f64_f32_e32 v[20:21], v20
	v_lshrrev_b32_e32 v26, 16, v4
	v_lshrrev_b32_e32 v0, v29, v14
	v_or_b32_e32 v23, v32, v23
	s_wait_alu 0xf1ff
	v_cndmask_b32_e64 v30, v25, v22, s0
	v_lshrrev_b32_e32 v22, 16, v115
	v_cmp_gt_i32_e64 s0, 1, v36
	v_lshlrev_b32_e32 v34, v29, v0
	v_lshrrev_b32_e32 v29, 8, v13
	v_sub_nc_u32_e32 v25, 0x3f1, v35
	v_mul_f16_e32 v31, v22, v26
	s_wait_alu 0xf1ff
	v_cndmask_b32_e64 v32, v27, v23, s0
	v_cvt_f32_f16_e32 v24, v24
	v_and_or_b32 v37, 0xffe, v29, v12
	v_lshrrev_b32_e32 v29, 2, v30
	v_fmac_f16_e32 v31, v115, v4
	v_mul_f16_e32 v4, v22, v4
	v_cvt_f64_f32_e32 v[22:23], v17
	v_and_b32_e32 v17, 7, v30
	v_and_b32_e32 v12, 7, v32
	v_med3_i32 v38, v25, 0, 13
	v_fma_f16 v4, v115, v26, -v4
	v_cvt_f64_f32_e32 v[24:25], v24
	v_cmp_lt_i32_e64 s0, 5, v17
	v_cmp_eq_u32_e64 s1, 3, v17
	v_cmp_lt_i32_e64 s2, 5, v12
	v_cmp_eq_u32_e64 s3, 3, v12
	s_wait_dscnt 0x0
	v_lshrrev_b32_e32 v12, 16, v28
	v_cvt_f32_f16_e32 v17, v31
	v_lshrrev_b32_e32 v31, 16, v107
	s_or_b32 s0, s1, s0
	v_cvt_f32_f16_e32 v4, v4
	v_cmp_gt_i32_e64 s1, 31, v36
	v_cvt_f64_f32_e32 v[26:27], v17
	v_mul_f16_e32 v30, v31, v12
	s_wait_alu 0xfffe
	v_add_co_ci_u32_e64 v17, s0, 0, v29, s0
	v_cmp_ne_u32_e64 s0, 0, v19
	v_mul_f64_e32 v[20:21], s[14:15], v[20:21]
	v_fmac_f16_e32 v30, v107, v28
	v_mul_f16_e32 v28, v31, v28
	global_store_b32 v[7:8], v16, off
	s_wait_alu 0xf1ff
	v_cndmask_b32_e64 v19, 0, 1, s0
	v_cmp_gt_i32_e64 s0, 31, v33
	v_cvt_f32_f16_e32 v30, v30
	v_fma_f16 v12, v107, v12, -v28
	v_cvt_f64_f32_e32 v[28:29], v4
	v_lshl_or_b32 v19, v19, 9, 0x7c00
	s_wait_alu 0xf1ff
	v_cndmask_b32_e64 v4, 0x7c00, v17, s0
	v_lshrrev_b32_e32 v17, 2, v32
	v_cvt_f64_f32_e32 v[30:31], v30
	v_cvt_f32_f16_e32 v12, v12
	s_or_b32 s0, s3, s2
	v_lshrrev_b32_e32 v6, 16, v6
	s_wait_alu 0xfffe
	v_add_co_ci_u32_e64 v32, s0, 0, v17, s0
	v_cmp_ne_u32_e64 s0, 0, v18
	v_mul_f64_e32 v[22:23], s[14:15], v[22:23]
	v_cvt_f64_f32_e32 v[17:18], v12
	s_delay_alu instid0(VALU_DEP_4)
	v_cndmask_b32_e64 v12, 0x7c00, v32, s1
	v_mul_f64_e32 v[24:25], s[14:15], v[24:25]
	s_wait_alu 0xf1ff
	v_cndmask_b32_e64 v39, 0, 1, s0
	v_cmp_eq_u32_e64 s0, 0x40f, v33
	v_or_b32_e32 v33, 0x1000, v37
	v_lshrrev_b32_e32 v13, 16, v13
	s_delay_alu instid0(VALU_DEP_4)
	v_lshl_or_b32 v32, v39, 9, 0x7c00
	s_wait_alu 0xf1ff
	v_cndmask_b32_e64 v4, v4, v19, s0
	v_cmp_eq_u32_e64 s0, 0x40f, v36
	v_lshrrev_b32_e32 v36, 16, v11
	v_lshrrev_b32_e32 v39, v38, v33
	s_delay_alu instid0(VALU_DEP_4)
	v_and_or_b32 v4, 0x8000, v9, v4
	s_wait_alu 0xf1ff
	v_cndmask_b32_e64 v32, v12, v32, s0
	v_mul_f64_e32 v[11:12], s[14:15], v[26:27]
	v_add_co_u32 v19, s0, v7, s10
	v_and_b32_e32 v4, 0xffff, v4
	s_delay_alu instid0(VALU_DEP_4)
	v_and_or_b32 v32, 0x8000, v36, v32
	v_bfe_u32 v36, v21, 20, 11
	v_and_or_b32 v9, 0x1ff, v21, v20
	s_wait_alu 0xf1ff
	v_add_co_ci_u32_e64 v20, s0, s11, v8, s0
	v_lshl_or_b32 v4, v32, 16, v4
	v_mul_f64_e32 v[26:27], s[14:15], v[28:29]
	v_sub_nc_u32_e32 v7, 0x3f1, v36
	v_cmp_ne_u32_e64 s0, 0, v9
	v_lshrrev_b32_e32 v40, 8, v21
	v_mul_f64_e32 v[28:29], s[14:15], v[30:31]
	global_store_b32 v[19:20], v4, off
	v_add_co_u32 v16, s1, v19, s8
	s_wait_alu 0xf1ff
	v_cndmask_b32_e64 v9, 0, 1, s0
	v_lshlrev_b32_e32 v38, v38, v39
	v_add_nc_u32_e32 v36, 0xfffffc10, v36
	v_and_or_b32 v4, 0x1ff, v23, v22
	v_med3_i32 v22, v7, 0, 13
	v_mul_f64_e32 v[7:8], s[14:15], v[17:18]
	v_and_or_b32 v9, 0xffe, v40, v9
	v_add_co_ci_u32_e64 v17, s1, s9, v20, s1
	v_and_or_b32 v19, 0x1ff, v25, v24
	v_cmp_ne_u32_e64 s1, 0, v4
	s_delay_alu instid0(VALU_DEP_4)
	v_or_b32_e32 v30, 0x1000, v9
	v_lshrrev_b32_e32 v20, 8, v23
	v_bfe_u32 v24, v23, 20, 11
	v_cmp_ne_u32_e64 s0, v38, v33
	s_wait_alu 0xf1ff
	v_cndmask_b32_e64 v4, 0, 1, s1
	v_lshrrev_b32_e32 v18, v22, v30
	v_cmp_ne_u32_e64 s1, 0, v19
	v_lshrrev_b32_e32 v31, 8, v25
	v_lshrrev_b32_e32 v23, 16, v23
	v_and_or_b32 v11, 0x1ff, v12, v11
	v_lshlrev_b32_e32 v22, v22, v18
	s_wait_alu 0xf1ff
	v_cndmask_b32_e64 v19, 0, 1, s1
	v_and_or_b32 v4, 0xffe, v20, v4
	v_sub_nc_u32_e32 v20, 0x3f1, v24
	v_cmp_ne_u32_e64 s2, 0, v11
	v_cmp_ne_u32_e64 s1, v22, v30
	v_lshrrev_b32_e32 v22, 8, v12
	v_and_or_b32 v19, 0xffe, v31, v19
	v_med3_i32 v20, v20, 0, 13
	s_wait_alu 0xf1ff
	v_cndmask_b32_e64 v11, 0, 1, s2
	v_cmp_ne_u32_e64 s2, v34, v14
	v_and_or_b32 v26, 0x1ff, v27, v26
	v_cndmask_b32_e64 v30, 0, 1, s0
	v_add_nc_u32_e32 v31, 0xfffffc10, v35
	v_and_or_b32 v11, 0xffe, v22, v11
	s_wait_alu 0xf1ff
	v_cndmask_b32_e64 v14, 0, 1, s2
	v_cmp_ne_u32_e64 s2, 0, v26
	v_and_or_b32 v22, 0x1ff, v29, v28
	v_lshrrev_b32_e32 v28, 8, v27
	v_or_b32_e32 v30, v39, v30
	v_or_b32_e32 v0, v0, v14
	v_lshl_or_b32 v14, v10, 12, v5
	s_wait_alu 0xf1ff
	v_cndmask_b32_e64 v26, 0, 1, s2
	v_cmp_gt_i32_e64 s2, 1, v10
	v_and_or_b32 v7, 0x1ff, v8, v7
	v_lshl_or_b32 v32, v31, 12, v37
	v_cndmask_b32_e64 v35, 0, 1, s1
	v_and_or_b32 v26, 0xffe, v28, v26
	s_wait_alu 0xf1ff
	v_cndmask_b32_e64 v0, v14, v0, s2
	v_cmp_ne_u32_e64 s2, 0, v22
	v_lshrrev_b32_e32 v22, 8, v29
	v_or_b32_e32 v18, v18, v35
	v_lshl_or_b32 v35, v36, 12, v9
	v_and_b32_e32 v28, 7, v0
	s_wait_alu 0xf1ff
	v_cndmask_b32_e64 v14, 0, 1, s2
	v_cmp_ne_u32_e64 s2, 0, v7
	v_lshrrev_b32_e32 v0, 2, v0
	v_or_b32_e32 v33, 0x1000, v11
	v_lshrrev_b32_e32 v21, 16, v21
	v_and_or_b32 v14, 0xffe, v22, v14
	s_wait_alu 0xf1ff
	v_cndmask_b32_e64 v7, 0, 1, s2
	v_cmp_lt_i32_e64 s2, 5, v28
	s_wait_alu 0xfffd
	v_cndmask_b32_e64 v22, 0, 1, vcc_lo
	v_cmp_eq_u32_e32 vcc_lo, 3, v28
	v_lshrrev_b32_e32 v28, 8, v8
	s_delay_alu instid0(VALU_DEP_3)
	v_or_b32_e32 v15, v15, v22
	s_or_b32 vcc_lo, vcc_lo, s2
	v_lshl_or_b32 v22, v3, 12, v1
	s_wait_alu 0xfffe
	v_add_co_ci_u32_e32 v0, vcc_lo, 0, v0, vcc_lo
	v_cmp_ne_u32_e32 vcc_lo, 0, v5
	v_and_or_b32 v7, 0xffe, v28, v7
	s_wait_alu 0xfffd
	v_cndmask_b32_e64 v5, 0, 1, vcc_lo
	v_cmp_gt_i32_e32 vcc_lo, 1, v3
	s_delay_alu instid0(VALU_DEP_2) | instskip(SKIP_4) | instid1(VALU_DEP_3)
	v_lshl_or_b32 v5, v5, 9, 0x7c00
	s_wait_alu 0xfffd
	v_cndmask_b32_e32 v15, v22, v15, vcc_lo
	v_cmp_gt_i32_e32 vcc_lo, 31, v10
	v_or_b32_e32 v22, 0x1000, v4
	v_and_b32_e32 v28, 7, v15
	s_wait_alu 0xfffd
	v_cndmask_b32_e32 v0, 0x7c00, v0, vcc_lo
	v_cmp_eq_u32_e32 vcc_lo, 0x40f, v10
	v_lshrrev_b32_e32 v15, 2, v15
	v_bfe_u32 v10, v25, 20, 11
	v_cmp_eq_u32_e64 s2, 3, v28
	s_wait_alu 0xfffd
	v_cndmask_b32_e32 v0, v0, v5, vcc_lo
	v_cmp_lt_i32_e32 vcc_lo, 5, v28
	v_lshrrev_b32_e32 v5, v20, v22
	v_sub_nc_u32_e32 v28, 0x3f1, v10
	v_add_nc_u32_e32 v10, 0xfffffc10, v10
	v_and_or_b32 v0, 0x8000, v6, v0
	s_or_b32 vcc_lo, s2, vcc_lo
	v_lshlrev_b32_e32 v20, v20, v5
	s_wait_alu 0xfffe
	v_add_co_ci_u32_e32 v15, vcc_lo, 0, v15, vcc_lo
	v_cmp_ne_u32_e32 vcc_lo, 0, v1
	v_med3_i32 v28, v28, 0, 13
	v_cmp_gt_i32_e64 s1, 1, v10
	v_and_b32_e32 v0, 0xffff, v0
	s_wait_alu 0xfffd
	v_cndmask_b32_e64 v1, 0, 1, vcc_lo
	v_cmp_gt_i32_e32 vcc_lo, 31, v3
	s_delay_alu instid0(VALU_DEP_2)
	v_lshl_or_b32 v1, v1, 9, 0x7c00
	s_wait_alu 0xfffd
	v_cndmask_b32_e32 v15, 0x7c00, v15, vcc_lo
	v_cmp_eq_u32_e32 vcc_lo, 0x40f, v3
	v_or_b32_e32 v3, 0x1000, v19
	s_wait_alu 0xfffd
	s_delay_alu instid0(VALU_DEP_3) | instskip(SKIP_3) | instid1(VALU_DEP_4)
	v_cndmask_b32_e32 v1, v15, v1, vcc_lo
	v_cmp_gt_i32_e32 vcc_lo, 1, v31
	v_bfe_u32 v15, v12, 20, 11
	v_lshrrev_b32_e32 v12, 16, v12
	v_and_or_b32 v1, 0x8000, v2, v1
	s_wait_alu 0xfffd
	v_cndmask_b32_e32 v30, v32, v30, vcc_lo
	v_cmp_ne_u32_e32 vcc_lo, v20, v22
	v_add_nc_u32_e32 v22, 0xfffffc10, v24
	v_lshrrev_b32_e32 v32, v28, v3
	v_sub_nc_u32_e32 v24, 0x3f1, v15
	v_add_nc_u32_e32 v15, 0xfffffc10, v15
	s_wait_alu 0xfffd
	v_cndmask_b32_e64 v20, 0, 1, vcc_lo
	v_cmp_gt_i32_e32 vcc_lo, 1, v22
	v_lshlrev_b32_e32 v28, v28, v32
	v_med3_i32 v24, v24, 0, 13
	v_lshl_or_b32 v38, v1, 16, v0
	v_or_b32_e32 v5, v5, v20
	v_lshl_or_b32 v20, v22, 12, v4
	v_or_b32_e32 v0, 0x1000, v14
	v_lshrrev_b32_e32 v6, v24, v33
	s_wait_alu 0xfffd
	s_delay_alu instid0(VALU_DEP_3) | instskip(SKIP_1) | instid1(VALU_DEP_3)
	v_dual_cndmask_b32 v5, v20, v5 :: v_dual_and_b32 v20, 7, v30
	v_lshrrev_b32_e32 v30, 2, v30
	v_lshlrev_b32_e32 v24, v24, v6
	s_delay_alu instid0(VALU_DEP_3) | instskip(NEXT) | instid1(VALU_DEP_4)
	v_and_b32_e32 v2, 7, v5
	v_cmp_lt_i32_e32 vcc_lo, 5, v20
	v_cmp_eq_u32_e64 s0, 3, v20
	v_lshrrev_b32_e32 v5, 2, v5
	v_bfe_u32 v20, v27, 20, 11
	v_cmp_lt_i32_e64 s2, 5, v2
	v_cmp_eq_u32_e64 s3, 3, v2
	s_or_b32 vcc_lo, s0, vcc_lo
	s_wait_alu 0xfffe
	v_add_co_ci_u32_e32 v2, vcc_lo, 0, v30, vcc_lo
	v_cmp_ne_u32_e32 vcc_lo, 0, v37
	v_sub_nc_u32_e32 v34, 0x3f1, v20
	s_wait_alu 0xfffd
	v_cndmask_b32_e64 v30, 0, 1, vcc_lo
	v_cmp_gt_i32_e32 vcc_lo, 31, v31
	s_delay_alu instid0(VALU_DEP_3) | instskip(NEXT) | instid1(VALU_DEP_3)
	v_med3_i32 v34, v34, 0, 13
	v_lshl_or_b32 v30, v30, 9, 0x7c00
	s_wait_alu 0xfffd
	v_cndmask_b32_e32 v2, 0x7c00, v2, vcc_lo
	v_cmp_eq_u32_e32 vcc_lo, 0x40f, v31
	v_or_b32_e32 v31, 0x1000, v26
	s_wait_alu 0xfffd
	s_delay_alu instid0(VALU_DEP_3) | instskip(SKIP_1) | instid1(VALU_DEP_2)
	v_cndmask_b32_e32 v2, v2, v30, vcc_lo
	s_or_b32 vcc_lo, s3, s2
	v_lshrrev_b32_e32 v30, v34, v31
	s_wait_alu 0xfffe
	v_add_co_ci_u32_e32 v5, vcc_lo, 0, v5, vcc_lo
	v_cmp_ne_u32_e32 vcc_lo, 0, v4
	v_and_or_b32 v2, 0x8000, v13, v2
	v_lshlrev_b32_e32 v34, v34, v30
	v_or_b32_e32 v13, 0x1000, v7
	s_wait_alu 0xfffd
	v_cndmask_b32_e64 v4, 0, 1, vcc_lo
	v_cmp_gt_i32_e32 vcc_lo, 31, v22
	v_and_b32_e32 v2, 0xffff, v2
	s_delay_alu instid0(VALU_DEP_3)
	v_lshl_or_b32 v4, v4, 9, 0x7c00
	s_wait_alu 0xfffd
	v_cndmask_b32_e32 v5, 0x7c00, v5, vcc_lo
	v_cmp_eq_u32_e32 vcc_lo, 0x40f, v22
	v_bfe_u32 v22, v29, 20, 11
	s_wait_alu 0xfffd
	s_delay_alu instid0(VALU_DEP_3) | instskip(SKIP_1) | instid1(VALU_DEP_3)
	v_cndmask_b32_e32 v4, v5, v4, vcc_lo
	v_cmp_gt_i32_e32 vcc_lo, 1, v36
	v_sub_nc_u32_e32 v37, 0x3f1, v22
	v_bfe_u32 v5, v8, 20, 11
	s_delay_alu instid0(VALU_DEP_4)
	v_and_or_b32 v4, 0x8000, v23, v4
	s_wait_alu 0xfffd
	v_cndmask_b32_e32 v18, v35, v18, vcc_lo
	v_cmp_ne_u32_e32 vcc_lo, v28, v3
	v_med3_i32 v37, v37, 0, 13
	v_sub_nc_u32_e32 v35, 0x3f1, v5
	s_delay_alu instid0(VALU_DEP_4)
	v_and_b32_e32 v3, 7, v18
	s_wait_alu 0xfffd
	v_cndmask_b32_e64 v28, 0, 1, vcc_lo
	v_lshrrev_b32_e32 v18, 2, v18
	v_med3_i32 v1, v35, 0, 13
	v_cmp_lt_i32_e32 vcc_lo, 5, v3
	v_cmp_eq_u32_e64 s0, 3, v3
	v_or_b32_e32 v28, v32, v28
	v_lshl_or_b32 v32, v10, 12, v19
	v_lshrrev_b32_e32 v3, v37, v0
	s_delay_alu instid0(VALU_DEP_4)
	s_or_b32 vcc_lo, s0, vcc_lo
	s_wait_alu 0xfffe
	v_add_co_ci_u32_e32 v18, vcc_lo, 0, v18, vcc_lo
	v_cmp_gt_i32_e32 vcc_lo, 31, v36
	v_cndmask_b32_e64 v28, v32, v28, s1
	v_cmp_gt_i32_e64 s1, 1, v15
	v_lshlrev_b32_e32 v35, v37, v3
	v_lshrrev_b32_e32 v32, v1, v13
	s_wait_alu 0xfffd
	v_cndmask_b32_e32 v18, 0x7c00, v18, vcc_lo
	v_cmp_ne_u32_e32 vcc_lo, v24, v33
	v_and_b32_e32 v23, 7, v28
	v_lshlrev_b32_e32 v1, v1, v32
	s_wait_alu 0xfffd
	v_cndmask_b32_e64 v24, 0, 1, vcc_lo
	v_cmp_ne_u32_e32 vcc_lo, 0, v9
	v_cmp_eq_u32_e64 s0, 3, v23
	s_delay_alu instid0(VALU_DEP_3)
	v_or_b32_e32 v6, v6, v24
	s_wait_alu 0xfffd
	v_cndmask_b32_e64 v9, 0, 1, vcc_lo
	v_cmp_lt_i32_e32 vcc_lo, 5, v23
	v_lshrrev_b32_e32 v23, 2, v28
	v_lshl_or_b32 v24, v15, 12, v11
	s_delay_alu instid0(VALU_DEP_4)
	v_lshl_or_b32 v9, v9, 9, 0x7c00
	s_or_b32 vcc_lo, s0, vcc_lo
	s_wait_alu 0xfffe
	v_add_co_ci_u32_e32 v23, vcc_lo, 0, v23, vcc_lo
	v_cmp_ne_u32_e32 vcc_lo, 0, v19
	v_cndmask_b32_e64 v6, v24, v6, s1
	v_cmp_eq_u32_e64 s1, 0x40f, v10
	s_wait_alu 0xfffd
	v_cndmask_b32_e64 v19, 0, 1, vcc_lo
	v_cmp_eq_u32_e32 vcc_lo, 0x40f, v36
	v_and_b32_e32 v24, 7, v6
	v_lshrrev_b32_e32 v6, 2, v6
	s_delay_alu instid0(VALU_DEP_4)
	v_lshl_or_b32 v19, v19, 9, 0x7c00
	s_wait_alu 0xfffd
	v_cndmask_b32_e32 v9, v18, v9, vcc_lo
	v_cmp_gt_i32_e32 vcc_lo, 31, v10
	v_cmp_eq_u32_e64 s0, 3, v24
	s_wait_alu 0xfffd
	v_cndmask_b32_e32 v18, 0x7c00, v23, vcc_lo
	v_cmp_lt_i32_e32 vcc_lo, 5, v24
	s_wait_alu 0xf1ff
	s_delay_alu instid0(VALU_DEP_2)
	v_cndmask_b32_e64 v10, v18, v19, s1
	s_or_b32 vcc_lo, s0, vcc_lo
	v_lshrrev_b32_e32 v18, 16, v25
	s_wait_alu 0xfffe
	v_add_co_ci_u32_e32 v6, vcc_lo, 0, v6, vcc_lo
	v_cmp_ne_u32_e32 vcc_lo, 0, v11
	v_lshl_or_b32 v19, v4, 16, v2
	v_and_or_b32 v2, 0x8000, v21, v9
	v_and_or_b32 v4, 0x8000, v18, v10
	v_add_nc_u32_e32 v10, 0xfffffc10, v20
	s_wait_alu 0xfffd
	v_cndmask_b32_e64 v11, 0, 1, vcc_lo
	v_cmp_gt_i32_e32 vcc_lo, 31, v15
	v_and_b32_e32 v2, 0xffff, v2
	s_delay_alu instid0(VALU_DEP_3)
	v_lshl_or_b32 v11, v11, 9, 0x7c00
	s_wait_alu 0xfffd
	v_cndmask_b32_e32 v6, 0x7c00, v6, vcc_lo
	v_cmp_eq_u32_e32 vcc_lo, 0x40f, v15
	v_lshl_or_b32 v15, v10, 12, v26
	s_wait_alu 0xfffd
	s_delay_alu instid0(VALU_DEP_3)
	v_cndmask_b32_e32 v6, v6, v11, vcc_lo
	v_cmp_ne_u32_e32 vcc_lo, v34, v31
	v_add_nc_u32_e32 v11, 0xfffffc10, v22
	s_wait_alu 0xfffd
	v_cndmask_b32_e64 v9, 0, 1, vcc_lo
	v_cmp_ne_u32_e32 vcc_lo, v35, v0
	s_delay_alu instid0(VALU_DEP_2) | instskip(SKIP_3) | instid1(VALU_DEP_2)
	v_or_b32_e32 v9, v30, v9
	s_wait_alu 0xfffd
	v_cndmask_b32_e64 v0, 0, 1, vcc_lo
	v_cmp_gt_i32_e32 vcc_lo, 1, v10
	v_or_b32_e32 v0, v3, v0
	v_lshl_or_b32 v3, v11, 12, v14
	s_wait_alu 0xfffd
	v_cndmask_b32_e32 v9, v15, v9, vcc_lo
	v_cmp_gt_i32_e32 vcc_lo, 1, v11
	v_lshl_or_b32 v15, v4, 16, v2
	s_delay_alu instid0(VALU_DEP_3)
	v_and_b32_e32 v2, 7, v9
	s_wait_alu 0xfffd
	v_cndmask_b32_e32 v0, v3, v0, vcc_lo
	v_cmp_ne_u32_e32 vcc_lo, v1, v13
	v_and_or_b32 v3, 0x8000, v12, v6
	v_cmp_eq_u32_e64 s0, 3, v2
	s_delay_alu instid0(VALU_DEP_4)
	v_and_b32_e32 v4, 7, v0
	s_wait_alu 0xfffd
	v_cndmask_b32_e64 v1, 0, 1, vcc_lo
	v_cmp_lt_i32_e32 vcc_lo, 5, v2
	v_add_nc_u32_e32 v2, 0xfffffc10, v5
	v_lshrrev_b32_e32 v5, 2, v9
	v_cmp_lt_i32_e64 s1, 5, v4
	v_or_b32_e32 v1, v32, v1
	s_or_b32 vcc_lo, s0, vcc_lo
	v_cmp_eq_u32_e64 s2, 3, v4
	s_wait_alu 0xfffe
	v_add_co_ci_u32_e32 v5, vcc_lo, 0, v5, vcc_lo
	v_cmp_ne_u32_e32 vcc_lo, 0, v26
	v_lshl_or_b32 v4, v2, 12, v7
	v_lshrrev_b32_e32 v0, 2, v0
	s_wait_alu 0xfffd
	v_cndmask_b32_e64 v6, 0, 1, vcc_lo
	v_cmp_gt_i32_e32 vcc_lo, 1, v2
	s_wait_alu 0xfffd
	v_cndmask_b32_e32 v1, v4, v1, vcc_lo
	v_cmp_gt_i32_e32 vcc_lo, 31, v10
	s_wait_alu 0xfffd
	v_cndmask_b32_e32 v4, 0x7c00, v5, vcc_lo
	s_or_b32 vcc_lo, s2, s1
	v_lshl_or_b32 v5, v6, 9, 0x7c00
	s_wait_alu 0xfffe
	v_add_co_ci_u32_e32 v0, vcc_lo, 0, v0, vcc_lo
	v_and_b32_e32 v6, 7, v1
	v_cmp_ne_u32_e32 vcc_lo, 0, v14
	v_lshrrev_b32_e32 v1, 2, v1
	v_cmp_gt_i32_e64 s1, 31, v11
	s_delay_alu instid0(VALU_DEP_4)
	v_cmp_eq_u32_e64 s0, 3, v6
	s_wait_alu 0xfffd
	v_cndmask_b32_e64 v9, 0, 1, vcc_lo
	v_cmp_lt_i32_e32 vcc_lo, 5, v6
	s_wait_alu 0xf1ff
	v_cndmask_b32_e64 v0, 0x7c00, v0, s1
	s_delay_alu instid0(VALU_DEP_3)
	v_lshl_or_b32 v6, v9, 9, 0x7c00
	s_or_b32 vcc_lo, s0, vcc_lo
	s_wait_alu 0xfffe
	v_add_co_ci_u32_e32 v1, vcc_lo, 0, v1, vcc_lo
	v_cmp_ne_u32_e32 vcc_lo, 0, v7
	s_wait_alu 0xfffd
	v_cndmask_b32_e64 v7, 0, 1, vcc_lo
	v_cmp_eq_u32_e32 vcc_lo, 0x40f, v11
	s_delay_alu instid0(VALU_DEP_2)
	v_lshl_or_b32 v7, v7, 9, 0x7c00
	s_wait_alu 0xfffd
	v_cndmask_b32_e32 v0, v0, v6, vcc_lo
	v_cmp_gt_i32_e32 vcc_lo, 31, v2
	v_lshrrev_b32_e32 v6, 16, v29
	s_wait_alu 0xfffd
	v_cndmask_b32_e32 v1, 0x7c00, v1, vcc_lo
	v_cmp_eq_u32_e32 vcc_lo, 0x40f, v10
	s_delay_alu instid0(VALU_DEP_3)
	v_and_or_b32 v6, 0x8000, v6, v0
	s_wait_alu 0xfffd
	v_cndmask_b32_e32 v4, v4, v5, vcc_lo
	v_cmp_eq_u32_e32 vcc_lo, 0x40f, v2
	v_lshrrev_b32_e32 v5, 16, v27
	v_and_b32_e32 v6, 0xffff, v6
	s_wait_alu 0xfffd
	v_cndmask_b32_e32 v2, v1, v7, vcc_lo
	v_lshrrev_b32_e32 v7, 16, v8
	v_add_co_u32 v0, vcc_lo, v16, s10
	s_wait_alu 0xfffd
	v_add_co_ci_u32_e32 v1, vcc_lo, s11, v17, vcc_lo
	v_and_or_b32 v4, 0x8000, v5, v4
	v_and_b32_e32 v5, 0xffff, v3
	v_and_or_b32 v7, 0x8000, v7, v2
	v_add_co_u32 v2, vcc_lo, v0, s10
	s_wait_alu 0xfffd
	v_add_co_ci_u32_e32 v3, vcc_lo, s11, v1, vcc_lo
	v_lshl_or_b32 v8, v4, 16, v5
	s_delay_alu instid0(VALU_DEP_3) | instskip(SKIP_1) | instid1(VALU_DEP_3)
	v_add_co_u32 v4, vcc_lo, v2, s10
	s_wait_alu 0xfffd
	v_add_co_ci_u32_e32 v5, vcc_lo, s11, v3, vcc_lo
	v_lshl_or_b32 v9, v7, 16, v6
	s_delay_alu instid0(VALU_DEP_3) | instskip(SKIP_1) | instid1(VALU_DEP_3)
	v_add_co_u32 v6, vcc_lo, v4, s10
	s_wait_alu 0xfffd
	v_add_co_ci_u32_e32 v7, vcc_lo, s11, v5, vcc_lo
	global_store_b32 v[16:17], v38, off
	global_store_b32 v[0:1], v19, off
	;; [unrolled: 1-line block ×5, first 2 shown]
.LBB0_2:
	s_nop 0
	s_sendmsg sendmsg(MSG_DEALLOC_VGPRS)
	s_endpgm
	.section	.rodata,"a",@progbits
	.p2align	6, 0x0
	.amdhsa_kernel bluestein_single_back_len3125_dim1_half_op_CI_CI
		.amdhsa_group_segment_fixed_size 12500
		.amdhsa_private_segment_fixed_size 0
		.amdhsa_kernarg_size 104
		.amdhsa_user_sgpr_count 2
		.amdhsa_user_sgpr_dispatch_ptr 0
		.amdhsa_user_sgpr_queue_ptr 0
		.amdhsa_user_sgpr_kernarg_segment_ptr 1
		.amdhsa_user_sgpr_dispatch_id 0
		.amdhsa_user_sgpr_private_segment_size 0
		.amdhsa_wavefront_size32 1
		.amdhsa_uses_dynamic_stack 0
		.amdhsa_enable_private_segment 0
		.amdhsa_system_sgpr_workgroup_id_x 1
		.amdhsa_system_sgpr_workgroup_id_y 0
		.amdhsa_system_sgpr_workgroup_id_z 0
		.amdhsa_system_sgpr_workgroup_info 0
		.amdhsa_system_vgpr_workitem_id 0
		.amdhsa_next_free_vgpr 256
		.amdhsa_next_free_sgpr 20
		.amdhsa_reserve_vcc 1
		.amdhsa_float_round_mode_32 0
		.amdhsa_float_round_mode_16_64 0
		.amdhsa_float_denorm_mode_32 3
		.amdhsa_float_denorm_mode_16_64 3
		.amdhsa_fp16_overflow 0
		.amdhsa_workgroup_processor_mode 1
		.amdhsa_memory_ordered 1
		.amdhsa_forward_progress 0
		.amdhsa_round_robin_scheduling 0
		.amdhsa_exception_fp_ieee_invalid_op 0
		.amdhsa_exception_fp_denorm_src 0
		.amdhsa_exception_fp_ieee_div_zero 0
		.amdhsa_exception_fp_ieee_overflow 0
		.amdhsa_exception_fp_ieee_underflow 0
		.amdhsa_exception_fp_ieee_inexact 0
		.amdhsa_exception_int_div_zero 0
	.end_amdhsa_kernel
	.text
.Lfunc_end0:
	.size	bluestein_single_back_len3125_dim1_half_op_CI_CI, .Lfunc_end0-bluestein_single_back_len3125_dim1_half_op_CI_CI
                                        ; -- End function
	.section	.AMDGPU.csdata,"",@progbits
; Kernel info:
; codeLenInByte = 54136
; NumSgprs: 22
; NumVgprs: 256
; ScratchSize: 0
; MemoryBound: 0
; FloatMode: 240
; IeeeMode: 1
; LDSByteSize: 12500 bytes/workgroup (compile time only)
; SGPRBlocks: 2
; VGPRBlocks: 31
; NumSGPRsForWavesPerEU: 22
; NumVGPRsForWavesPerEU: 256
; Occupancy: 5
; WaveLimiterHint : 1
; COMPUTE_PGM_RSRC2:SCRATCH_EN: 0
; COMPUTE_PGM_RSRC2:USER_SGPR: 2
; COMPUTE_PGM_RSRC2:TRAP_HANDLER: 0
; COMPUTE_PGM_RSRC2:TGID_X_EN: 1
; COMPUTE_PGM_RSRC2:TGID_Y_EN: 0
; COMPUTE_PGM_RSRC2:TGID_Z_EN: 0
; COMPUTE_PGM_RSRC2:TIDIG_COMP_CNT: 0
	.text
	.p2alignl 7, 3214868480
	.fill 96, 4, 3214868480
	.type	__hip_cuid_81009cfd87cf257b,@object ; @__hip_cuid_81009cfd87cf257b
	.section	.bss,"aw",@nobits
	.globl	__hip_cuid_81009cfd87cf257b
__hip_cuid_81009cfd87cf257b:
	.byte	0                               ; 0x0
	.size	__hip_cuid_81009cfd87cf257b, 1

	.ident	"AMD clang version 19.0.0git (https://github.com/RadeonOpenCompute/llvm-project roc-6.4.0 25133 c7fe45cf4b819c5991fe208aaa96edf142730f1d)"
	.section	".note.GNU-stack","",@progbits
	.addrsig
	.addrsig_sym __hip_cuid_81009cfd87cf257b
	.amdgpu_metadata
---
amdhsa.kernels:
  - .args:
      - .actual_access:  read_only
        .address_space:  global
        .offset:         0
        .size:           8
        .value_kind:     global_buffer
      - .actual_access:  read_only
        .address_space:  global
        .offset:         8
        .size:           8
        .value_kind:     global_buffer
      - .actual_access:  read_only
        .address_space:  global
        .offset:         16
        .size:           8
        .value_kind:     global_buffer
      - .actual_access:  read_only
        .address_space:  global
        .offset:         24
        .size:           8
        .value_kind:     global_buffer
      - .actual_access:  read_only
        .address_space:  global
        .offset:         32
        .size:           8
        .value_kind:     global_buffer
      - .offset:         40
        .size:           8
        .value_kind:     by_value
      - .address_space:  global
        .offset:         48
        .size:           8
        .value_kind:     global_buffer
      - .address_space:  global
        .offset:         56
        .size:           8
        .value_kind:     global_buffer
      - .address_space:  global
        .offset:         64
        .size:           8
        .value_kind:     global_buffer
      - .address_space:  global
        .offset:         72
        .size:           8
        .value_kind:     global_buffer
      - .offset:         80
        .size:           4
        .value_kind:     by_value
      - .address_space:  global
        .offset:         88
        .size:           8
        .value_kind:     global_buffer
      - .address_space:  global
        .offset:         96
        .size:           8
        .value_kind:     global_buffer
    .group_segment_fixed_size: 12500
    .kernarg_segment_align: 8
    .kernarg_segment_size: 104
    .language:       OpenCL C
    .language_version:
      - 2
      - 0
    .max_flat_workgroup_size: 125
    .name:           bluestein_single_back_len3125_dim1_half_op_CI_CI
    .private_segment_fixed_size: 0
    .sgpr_count:     22
    .sgpr_spill_count: 0
    .symbol:         bluestein_single_back_len3125_dim1_half_op_CI_CI.kd
    .uniform_work_group_size: 1
    .uses_dynamic_stack: false
    .vgpr_count:     256
    .vgpr_spill_count: 0
    .wavefront_size: 32
    .workgroup_processor_mode: 1
amdhsa.target:   amdgcn-amd-amdhsa--gfx1201
amdhsa.version:
  - 1
  - 2
...

	.end_amdgpu_metadata
